;; amdgpu-corpus repo=ROCm/flash-attention kind=compiled arch=gfx90a opt=O3
	.text
	.amdgcn_target "amdgcn-amd-amdhsa--gfx90a"
	.amdhsa_code_object_version 6
	.section	.text._ZN7ck_tileL11flush_cacheEv,"axG",@progbits,_ZN7ck_tileL11flush_cacheEv,comdat
	.globl	_ZN7ck_tileL11flush_cacheEv     ; -- Begin function _ZN7ck_tileL11flush_cacheEv
	.p2align	8
	.type	_ZN7ck_tileL11flush_cacheEv,@function
_ZN7ck_tileL11flush_cacheEv:            ; @_ZN7ck_tileL11flush_cacheEv
; %bb.0:
	;;#ASMSTART
	s_icache_inv 
	s_nop 0 
	s_nop 0 
	;; [unrolled: 1-line block ×16, first 2 shown]
	
	;;#ASMEND
	s_endpgm
	.section	.rodata,"a",@progbits
	.p2align	6, 0x0
	.amdhsa_kernel _ZN7ck_tileL11flush_cacheEv
		.amdhsa_group_segment_fixed_size 0
		.amdhsa_private_segment_fixed_size 0
		.amdhsa_kernarg_size 0
		.amdhsa_user_sgpr_count 4
		.amdhsa_user_sgpr_private_segment_buffer 1
		.amdhsa_user_sgpr_dispatch_ptr 0
		.amdhsa_user_sgpr_queue_ptr 0
		.amdhsa_user_sgpr_kernarg_segment_ptr 0
		.amdhsa_user_sgpr_dispatch_id 0
		.amdhsa_user_sgpr_flat_scratch_init 0
		.amdhsa_user_sgpr_kernarg_preload_length 0
		.amdhsa_user_sgpr_kernarg_preload_offset 0
		.amdhsa_user_sgpr_private_segment_size 0
		.amdhsa_uses_dynamic_stack 0
		.amdhsa_system_sgpr_private_segment_wavefront_offset 0
		.amdhsa_system_sgpr_workgroup_id_x 1
		.amdhsa_system_sgpr_workgroup_id_y 0
		.amdhsa_system_sgpr_workgroup_id_z 0
		.amdhsa_system_sgpr_workgroup_info 0
		.amdhsa_system_vgpr_workitem_id 0
		.amdhsa_next_free_vgpr 1
		.amdhsa_next_free_sgpr 0
		.amdhsa_accum_offset 4
		.amdhsa_reserve_vcc 0
		.amdhsa_reserve_flat_scratch 0
		.amdhsa_float_round_mode_32 0
		.amdhsa_float_round_mode_16_64 0
		.amdhsa_float_denorm_mode_32 0
		.amdhsa_float_denorm_mode_16_64 3
		.amdhsa_dx10_clamp 1
		.amdhsa_ieee_mode 1
		.amdhsa_fp16_overflow 0
		.amdhsa_tg_split 0
		.amdhsa_exception_fp_ieee_invalid_op 0
		.amdhsa_exception_fp_denorm_src 0
		.amdhsa_exception_fp_ieee_div_zero 0
		.amdhsa_exception_fp_ieee_overflow 0
		.amdhsa_exception_fp_ieee_underflow 0
		.amdhsa_exception_fp_ieee_inexact 0
		.amdhsa_exception_int_div_zero 0
	.end_amdhsa_kernel
	.section	.text._ZN7ck_tileL11flush_cacheEv,"axG",@progbits,_ZN7ck_tileL11flush_cacheEv,comdat
.Lfunc_end0:
	.size	_ZN7ck_tileL11flush_cacheEv, .Lfunc_end0-_ZN7ck_tileL11flush_cacheEv
                                        ; -- End function
	.section	.AMDGPU.csdata,"",@progbits
; Kernel info:
; codeLenInByte = 140
; NumSgprs: 4
; NumVgprs: 0
; NumAgprs: 0
; TotalNumVgprs: 0
; ScratchSize: 0
; MemoryBound: 0
; FloatMode: 192
; IeeeMode: 1
; LDSByteSize: 0 bytes/workgroup (compile time only)
; SGPRBlocks: 0
; VGPRBlocks: 0
; NumSGPRsForWavesPerEU: 4
; NumVGPRsForWavesPerEU: 1
; AccumOffset: 4
; Occupancy: 8
; WaveLimiterHint : 0
; COMPUTE_PGM_RSRC2:SCRATCH_EN: 0
; COMPUTE_PGM_RSRC2:USER_SGPR: 4
; COMPUTE_PGM_RSRC2:TRAP_HANDLER: 0
; COMPUTE_PGM_RSRC2:TGID_X_EN: 1
; COMPUTE_PGM_RSRC2:TGID_Y_EN: 0
; COMPUTE_PGM_RSRC2:TGID_Z_EN: 0
; COMPUTE_PGM_RSRC2:TIDIG_COMP_CNT: 0
; COMPUTE_PGM_RSRC3_GFX90A:ACCUM_OFFSET: 0
; COMPUTE_PGM_RSRC3_GFX90A:TG_SPLIT: 0
	.text
	.p2align	2                               ; -- Begin function _ZNK7ck_tile13FmhaFwdKernelINS_23BlockFmhaPipelineQRKSVSINS_24BlockFmhaPipelineProblemItttffthftftNS_13TileFmhaShapeINS_8sequenceIJLi128ELi128ELi32ELi256ELi32ELi256EEEENS4_IJLi4ELi1ELi1EEEENS4_IJLi32ELi32ELi16EEEES6_S7_Lb1EEELb0ENS_17ComposedAttentionILj4ELb1EEENS_30SimplifiedGenericAttentionMaskILb1EEELb0ENS_14TileFmhaTraitsILb0ELb0ELb0ELb0ELb1ELNS_22BlockAttentionBiasEnumE0ELb0ELb1ELb1ELNS_28BlockAttentionQuantScaleEnumE0ELin1ELb0ELb0EEEEENS_35BlockFmhaPipelineQXKSVSCustomPolicyILb1ELb0ELi1ELi1EEEEENS_17Default2DEpilogueINS_24Default2DEpilogueProblemIftLb0ELb0ELb1EEEvEEE4run_ENSP_21FmhaFwdBatchModeKargsE
	.type	_ZNK7ck_tile13FmhaFwdKernelINS_23BlockFmhaPipelineQRKSVSINS_24BlockFmhaPipelineProblemItttffthftftNS_13TileFmhaShapeINS_8sequenceIJLi128ELi128ELi32ELi256ELi32ELi256EEEENS4_IJLi4ELi1ELi1EEEENS4_IJLi32ELi32ELi16EEEES6_S7_Lb1EEELb0ENS_17ComposedAttentionILj4ELb1EEENS_30SimplifiedGenericAttentionMaskILb1EEELb0ENS_14TileFmhaTraitsILb0ELb0ELb0ELb0ELb1ELNS_22BlockAttentionBiasEnumE0ELb0ELb1ELb1ELNS_28BlockAttentionQuantScaleEnumE0ELin1ELb0ELb0EEEEENS_35BlockFmhaPipelineQXKSVSCustomPolicyILb1ELb0ELi1ELi1EEEEENS_17Default2DEpilogueINS_24Default2DEpilogueProblemIftLb0ELb0ELb1EEEvEEE4run_ENSP_21FmhaFwdBatchModeKargsE,@function
_ZNK7ck_tile13FmhaFwdKernelINS_23BlockFmhaPipelineQRKSVSINS_24BlockFmhaPipelineProblemItttffthftftNS_13TileFmhaShapeINS_8sequenceIJLi128ELi128ELi32ELi256ELi32ELi256EEEENS4_IJLi4ELi1ELi1EEEENS4_IJLi32ELi32ELi16EEEES6_S7_Lb1EEELb0ENS_17ComposedAttentionILj4ELb1EEENS_30SimplifiedGenericAttentionMaskILb1EEELb0ENS_14TileFmhaTraitsILb0ELb0ELb0ELb0ELb1ELNS_22BlockAttentionBiasEnumE0ELb0ELb1ELb1ELNS_28BlockAttentionQuantScaleEnumE0ELin1ELb0ELb0EEEEENS_35BlockFmhaPipelineQXKSVSCustomPolicyILb1ELb0ELi1ELi1EEEEENS_17Default2DEpilogueINS_24Default2DEpilogueProblemIftLb0ELb0ELb1EEEvEEE4run_ENSP_21FmhaFwdBatchModeKargsE: ; @_ZNK7ck_tile13FmhaFwdKernelINS_23BlockFmhaPipelineQRKSVSINS_24BlockFmhaPipelineProblemItttffthftftNS_13TileFmhaShapeINS_8sequenceIJLi128ELi128ELi32ELi256ELi32ELi256EEEENS4_IJLi4ELi1ELi1EEEENS4_IJLi32ELi32ELi16EEEES6_S7_Lb1EEELb0ENS_17ComposedAttentionILj4ELb1EEENS_30SimplifiedGenericAttentionMaskILb1EEELb0ENS_14TileFmhaTraitsILb0ELb0ELb0ELb0ELb1ELNS_22BlockAttentionBiasEnumE0ELb0ELb1ELb1ELNS_28BlockAttentionQuantScaleEnumE0ELin1ELb0ELb0EEEEENS_35BlockFmhaPipelineQXKSVSCustomPolicyILb1ELb0ELi1ELi1EEEEENS_17Default2DEpilogueINS_24Default2DEpilogueProblemIftLb0ELb0ELb1EEEvEEE4run_ENSP_21FmhaFwdBatchModeKargsE
; %bb.0:
	s_waitcnt vmcnt(0) expcnt(0) lgkmcnt(0)
	s_or_saveexec_b64 s[4:5], -1
	buffer_store_dword v255, off, s[0:3], s32 offset:1688 ; 4-byte Folded Spill
	s_mov_b64 exec, s[4:5]
	buffer_store_dword v40, off, s[0:3], s32 offset:1444 ; 4-byte Folded Spill
	buffer_store_dword v41, off, s[0:3], s32 offset:1440 ; 4-byte Folded Spill
	;; [unrolled: 1-line block ×335, first 2 shown]
	v_writelane_b32 v255, s34, 0
	v_writelane_b32 v255, s35, 1
	;; [unrolled: 1-line block ×21, first 2 shown]
	buffer_store_dword v24, off, s[0:3], s32 offset:1664 ; 4-byte Folded Spill
	buffer_store_dword v20, off, s[0:3], s32 offset:1660 ; 4-byte Folded Spill
	;; [unrolled: 1-line block ×3, first 2 shown]
	v_mov_b32_e32 v68, v11
	buffer_store_dword v10, off, s[0:3], s32 offset:1532 ; 4-byte Folded Spill
	s_nop 0
	buffer_store_dword v11, off, s[0:3], s32 offset:1536 ; 4-byte Folded Spill
	buffer_store_dword v7, off, s[0:3], s32 offset:1668 ; 4-byte Folded Spill
	buffer_store_dword v6, off, s[0:3], s32 offset:1672 ; 4-byte Folded Spill
	buffer_load_dword v157, off, s[0:3], s32 offset:52
	buffer_load_dword v156, off, s[0:3], s32 offset:48
	s_nop 0
	buffer_load_dword v7, off, s[0:3], s32 offset:28
	buffer_load_dword v6, off, s[0:3], s32 offset:24
	;; [unrolled: 1-line block ×5, first 2 shown]
	buffer_load_dword v37, off, s[0:3], s32
	buffer_load_dword v33, off, s[0:3], s32 offset:104
	buffer_load_dword v32, off, s[0:3], s32 offset:100
	;; [unrolled: 1-line block ×9, first 2 shown]
	buffer_load_ubyte v18, off, s[0:3], s32 offset:44
	buffer_load_ubyte v254, off, s[0:3], s32 offset:40
	buffer_load_dword v48, off, s[0:3], s32 offset:36
	buffer_load_ubyte v54, off, s[0:3], s32 offset:32
	buffer_load_dword v49, off, s[0:3], s32 offset:12
	buffer_load_dword v39, off, s[0:3], s32 offset:8
	;; [unrolled: 1-line block ×3, first 2 shown]
	s_abs_i32 s4, s13
	s_waitcnt vmcnt(0)
	buffer_store_dword v50, off, s[0:3], s32 offset:1676 ; 4-byte Folded Spill
	buffer_load_dword v53, off, s[0:3], s32 offset:84
	buffer_load_dword v52, off, s[0:3], s32 offset:80
	buffer_load_dword v51, off, s[0:3], s32 offset:76
	v_add_u32_e32 v50, 0xff, v13
	v_ashrrev_i32_e32 v55, 31, v50
	v_add_u32_sdwa v50, v50, v55 dst_sel:DWORD dst_unused:UNUSED_PAD src0_sel:DWORD src1_sel:BYTE_3
	v_ashrrev_i32_e32 v50, 8, v50
	v_sub_u32_e32 v55, 0, v50
	v_max_i32_e32 v55, v50, v55
	v_cvt_f32_u32_e32 v64, v55
	v_sub_u32_e32 v65, 0, v55
	v_rcp_iflag_f32_e32 v64, v64
	v_mul_f32_e32 v64, 0x4f7ffffe, v64
	v_cvt_u32_f32_e32 v64, v64
	v_mul_lo_u32 v65, v65, v64
	v_mul_hi_u32 v65, v64, v65
	v_add_u32_e32 v64, v64, v65
	v_mul_hi_u32 v64, s4, v64
	v_mul_lo_u32 v65, v64, v55
	v_sub_u32_e32 v65, s4, v65
	v_add_u32_e32 v66, 1, v64
	v_cmp_ge_u32_e32 vcc, v65, v55
	v_cndmask_b32_e32 v64, v64, v66, vcc
	v_sub_u32_e32 v66, v65, v55
	v_cndmask_b32_e32 v65, v65, v66, vcc
	v_add_u32_e32 v66, 1, v64
	v_cmp_ge_u32_e32 vcc, v65, v55
	s_load_dword s4, s[8:9], 0x4
	s_load_dword s5, s[8:9], 0x14
	v_cndmask_b32_e32 v55, v64, v66, vcc
	v_xor_b32_e32 v64, s13, v50
	v_ashrrev_i32_e32 v64, 31, v64
	v_xor_b32_e32 v55, v55, v64
	v_sub_u32_e32 v55, v55, v64
	v_mul_lo_u32 v50, v55, v50
	v_not_b32_e32 v55, v55
	s_waitcnt lgkmcnt(0)
	v_mov_b32_e32 v64, s4
	v_cmp_ne_u16_e64 vcc, s5, 0
	v_sub_u32_e32 v50, s13, v50
	v_addc_co_u32_e32 v55, vcc, v55, v64, vcc
	v_lshlrev_b32_e32 v55, 7, v55
	v_lshlrev_b32_e32 v50, 8, v50
	v_readfirstlane_b32 s18, v55
	v_readfirstlane_b32 s26, v50
	v_cmp_ne_u64_e32 vcc, 0, v[8:9]
	v_mov_b32_e32 v50, 0xff800000
	s_and_saveexec_b64 s[4:5], vcc
	s_cbranch_execz .LBB1_2
; %bb.1:
	s_ashr_i32 s13, s12, 31
	s_lshl_b64 s[6:7], s[12:13], 2
	v_mov_b32_e32 v50, s7
	v_add_co_u32_e32 v8, vcc, s6, v8
	v_addc_co_u32_e32 v9, vcc, v9, v50, vcc
	flat_load_dword v8, v[8:9]
	s_waitcnt vmcnt(0) lgkmcnt(0)
	v_div_scale_f32 v9, s[6:7], v16, v16, v8
	v_rcp_f32_e32 v50, v9
	v_div_scale_f32 v55, vcc, v8, v16, v8
	s_setreg_imm32_b32 hwreg(HW_REG_MODE, 4, 2), 3
	v_fma_f32 v64, -v9, v50, 1.0
	v_fmac_f32_e32 v50, v64, v50
	v_mul_f32_e32 v64, v55, v50
	v_fma_f32 v65, -v9, v64, v55
	v_fmac_f32_e32 v64, v65, v50
	v_fma_f32 v9, -v9, v64, v55
	s_setreg_imm32_b32 hwreg(HW_REG_MODE, 4, 2), 0
	v_div_fmas_f32 v9, v9, v50, v64
	v_div_fixup_f32 v50, v9, v16, v8
.LBB1_2:
	s_or_b64 exec, exec, s[4:5]
	s_ashr_i32 s15, s14, 31
	v_cmp_ne_u64_e32 vcc, 0, v[34:35]
	s_and_saveexec_b64 s[4:5], vcc
	s_cbranch_execz .LBB1_4
; %bb.3:
	s_lshl_b64 s[6:7], s[14:15], 2
	v_mov_b32_e32 v9, s7
	v_add_co_u32_e32 v8, vcc, s6, v34
	v_addc_co_u32_e32 v9, vcc, v35, v9, vcc
	flat_load_dwordx2 v[8:9], v[8:9]
	s_waitcnt vmcnt(0) lgkmcnt(0)
	v_sub_u32_e32 v8, v9, v8
	buffer_store_dword v8, off, s[0:3], s32 offset:1532 ; 4-byte Folded Spill
	s_nop 0
	buffer_store_dword v9, off, s[0:3], s32 offset:1536 ; 4-byte Folded Spill
.LBB1_4:
	s_or_b64 exec, exec, s[4:5]
	v_cmp_ne_u64_e32 vcc, 0, v[32:33]
	s_and_saveexec_b64 s[4:5], vcc
	s_cbranch_execz .LBB1_6
; %bb.5:
	s_lshl_b64 s[6:7], s[14:15], 2
	v_mov_b32_e32 v9, s7
	v_add_co_u32_e32 v8, vcc, s6, v32
	v_addc_co_u32_e32 v9, vcc, v33, v9, vcc
	flat_load_dwordx2 v[8:9], v[8:9]
	s_waitcnt vmcnt(0) lgkmcnt(0)
	v_sub_u32_e32 v68, v9, v8
.LBB1_6:
	s_or_b64 exec, exec, s[4:5]
	v_sub_u32_e32 v8, 0, v15
	v_max_i32_e32 v8, v15, v8
	v_cvt_f32_u32_e32 v9, v8
	v_and_b32_e32 v32, 1, v54
	v_cmp_eq_u32_e32 vcc, 1, v32
	v_sub_u32_e32 v32, 0, v8
	v_rcp_iflag_f32_e32 v9, v9
	s_abs_i32 s23, s12
	v_mul_f32_e32 v9, 0x4f7ffffe, v9
	v_cvt_u32_f32_e32 v9, v9
	v_mul_lo_u32 v32, v32, v9
	v_mul_hi_u32 v32, v9, v32
	v_add_u32_e32 v9, v9, v32
	v_mad_u64_u32 v[158:159], s[4:5], s23, v9, 0
	s_xor_b64 s[4:5], vcc, -1
	s_and_saveexec_b64 s[6:7], s[4:5]
	s_cbranch_execz .LBB1_8
; %bb.7:
	flat_load_dwordx2 v[10:11], v[10:11]
.LBB1_8:
	s_or_b64 exec, exec, s[6:7]
	s_and_saveexec_b64 s[6:7], s[4:5]
	s_cbranch_execz .LBB1_10
; %bb.9:
	flat_load_dwordx2 v[6:7], v[6:7]
.LBB1_10:
	s_or_b64 exec, exec, s[6:7]
	buffer_load_dword v64, off, s[0:3], s32 offset:1532 ; 4-byte Folded Reload
	buffer_load_dword v65, off, s[0:3], s32 offset:1536 ; 4-byte Folded Reload
	v_mad_i64_i32 v[54:55], s[4:5], v21, s12, 0
	v_lshlrev_b64 v[54:55], 1, v[54:55]
	v_add_co_u32_e32 v9, vcc, v0, v54
	v_addc_co_u32_e32 v21, vcc, v1, v55, vcc
	v_add_co_u32_e64 v0, vcc, 0, 0
	v_addc_co_u32_e64 v0, s[4:5], -1, v12, vcc
	s_waitcnt vmcnt(0)
	v_mad_i64_i32 v[32:33], s[4:5], v51, s14, 0
	v_add_co_u32_e64 v12, s[4:5], 1, v0
	v_addc_co_u32_e64 v0, s[4:5], -1, v13, vcc
	v_mad_i64_i32 v[34:35], s[4:5], v49, s14, 0
	v_add_co_u32_e64 v54, s[4:5], 1, v0
	v_lshlrev_b64 v[0:1], 1, v[32:33]
	v_add_co_u32_e64 v32, s[4:5], v9, v0
	v_addc_co_u32_e64 v33, s[4:5], v21, v1, s[4:5]
	v_mad_i64_i32 v[0:1], s[4:5], v39, s12, 0
	v_lshlrev_b64 v[0:1], 2, v[0:1]
	v_add_co_u32_e64 v9, s[4:5], v37, v0
	v_addc_co_u32_e64 v13, s[4:5], v29, v1, s[4:5]
	v_lshlrev_b64 v[0:1], 2, v[34:35]
	v_add_co_u32_e64 v0, s[4:5], v9, v0
	v_addc_co_u32_e64 v1, s[4:5], v13, v1, s[4:5]
	buffer_store_dword v0, off, s[0:3], s32 offset:1644 ; 4-byte Folded Spill
	s_nop 0
	buffer_store_dword v1, off, s[0:3], s32 offset:1648 ; 4-byte Folded Spill
	buffer_store_dword v2, off, s[0:3], s32 offset:1652 ; 4-byte Folded Spill
	;; [unrolled: 1-line block ×3, first 2 shown]
	v_cmp_lt_i32_e64 s[4:5], 0, v25
	v_cndmask_b32_e64 v0, v14, v25, s[4:5]
	v_add_u32_e32 v1, s12, v26
	v_mul_lo_u32 v0, v0, s14
	v_add_lshl_u32 v0, v1, v0, 6
	v_ashrrev_i32_e32 v1, 31, v0
	s_waitcnt lgkmcnt(0)
	v_add_co_u32_e64 v0, s[4:5], v6, v0
	v_addc_co_u32_e64 v1, s[4:5], v7, v1, s[4:5]
	v_readfirstlane_b32 s19, v0
	v_add_u32_e32 v0, -1, v68
	v_cmp_eq_u32_e64 s[4:5], 1, v30
	v_readfirstlane_b32 s22, v1
	v_cmp_gt_i32_e64 s[6:7], 0, v27
	s_ashr_i32 s24, s12, 31
	v_ashrrev_i32_e32 v15, 31, v15
	v_readfirstlane_b32 s13, v10
	v_readfirstlane_b32 s15, v11
	v_mov_b32_e32 v35, 0x20000
	s_mov_b64 s[16:17], exec
	v_add_u32_e32 v49, -1, v64
	v_cndmask_b32_e64 v1, v0, v49, s[4:5]
	v_sub_u32_e32 v6, v68, v64
	v_cndmask_b32_e64 v0, v49, v0, s[4:5]
	v_cndmask_b32_e64 v1, v27, v1, s[6:7]
	v_cmp_gt_i32_e64 s[6:7], 0, v28
	v_add_u32_e32 v6, 1, v6
	v_cndmask_b32_e64 v0, v28, v0, s[6:7]
	v_sub_u32_e32 v7, v64, v68
	v_cndmask_b32_e64 v6, v6, 1, s[4:5]
	v_add_u32_e32 v7, 1, v7
	v_add_u32_e32 v0, v0, v6
	buffer_store_dword v0, off, s[0:3], s32 offset:1628 ; 4-byte Folded Spill
	v_cndmask_b32_e64 v0, v7, 1, s[4:5]
	v_add_u32_e32 v0, v1, v0
	buffer_store_dword v0, off, s[0:3], s32 offset:1540 ; 4-byte Folded Spill
	v_and_b32_e32 v0, 0x3c0, v31
	v_lshrrev_b32_e32 v55, 6, v0
	v_mbcnt_lo_u32_b32 v0, -1, 0
	v_mbcnt_hi_u32_b32 v0, -1, v0
	v_and_b32_e32 v6, 31, v0
	v_readfirstlane_b32 s4, v55
	v_add_u32_e32 v7, s18, v6
	buffer_store_dword v7, off, s[0:3], s32 offset:1452 ; 4-byte Folded Spill
	v_lshl_add_u32 v7, s4, 5, v7
	v_mul_lo_u32 v7, v7, v17
	v_mul_lo_u32 v51, v17, v49
	v_lshrrev_b32_e32 v1, 5, v0
	v_lshlrev_b32_e32 v7, 1, v7
	v_lshl_add_u32 v7, v1, 4, v7
	v_add_lshl_u32 v34, v51, v12, 1
.LBB1_11:                               ; =>This Inner Loop Header: Depth=1
	v_readfirstlane_b32 s8, v32
	v_readfirstlane_b32 s9, v33
	;; [unrolled: 1-line block ×4, first 2 shown]
	v_cmp_eq_u64_e64 s[4:5], s[8:9], v[32:33]
	v_cmp_eq_u64_e64 s[6:7], s[10:11], v[34:35]
	s_and_b64 s[4:5], s[4:5], s[6:7]
	s_and_saveexec_b64 s[4:5], s[4:5]
	s_nop 0
	buffer_load_dwordx4 a[132:135], v7, s[8:11], 0 offen
	s_xor_b64 exec, exec, s[4:5]
	s_cbranch_execnz .LBB1_11
; %bb.12:
	s_mov_b64 exec, s[16:17]
	s_mov_b64 s[16:17], exec
.LBB1_13:                               ; =>This Inner Loop Header: Depth=1
	v_readfirstlane_b32 s8, v32
	v_readfirstlane_b32 s9, v33
	v_readfirstlane_b32 s10, v34
	v_readfirstlane_b32 s11, v35
	v_cmp_eq_u64_e64 s[4:5], s[8:9], v[32:33]
	v_cmp_eq_u64_e64 s[6:7], s[10:11], v[34:35]
	s_and_b64 s[4:5], s[4:5], s[6:7]
	s_and_saveexec_b64 s[4:5], s[4:5]
	s_nop 0
	buffer_load_dwordx4 a[128:131], v7, s[8:11], 0 offen offset:32
	s_xor_b64 exec, exec, s[4:5]
	s_cbranch_execnz .LBB1_13
; %bb.14:
	s_mov_b64 exec, s[16:17]
	s_mov_b64 s[16:17], exec
.LBB1_15:                               ; =>This Inner Loop Header: Depth=1
	v_readfirstlane_b32 s8, v32
	v_readfirstlane_b32 s9, v33
	v_readfirstlane_b32 s10, v34
	v_readfirstlane_b32 s11, v35
	v_cmp_eq_u64_e64 s[4:5], s[8:9], v[32:33]
	v_cmp_eq_u64_e64 s[6:7], s[10:11], v[34:35]
	s_and_b64 s[4:5], s[4:5], s[6:7]
	s_and_saveexec_b64 s[4:5], s[4:5]
	s_nop 0
	buffer_load_dwordx4 a[136:139], v7, s[8:11], 0 offen offset:64
	s_xor_b64 exec, exec, s[4:5]
	s_cbranch_execnz .LBB1_15
	;; [unrolled: 16-line block ×14, first 2 shown]
; %bb.40:
	s_mov_b64 exec, s[16:17]
	s_mov_b64 s[16:17], exec
.LBB1_41:                               ; =>This Inner Loop Header: Depth=1
	v_readfirstlane_b32 s8, v32
	v_readfirstlane_b32 s9, v33
	;; [unrolled: 1-line block ×4, first 2 shown]
	v_cmp_eq_u64_e64 s[4:5], s[8:9], v[32:33]
	v_cmp_eq_u64_e64 s[6:7], s[10:11], v[34:35]
	s_and_b64 s[4:5], s[4:5], s[6:7]
	s_and_saveexec_b64 s[4:5], s[4:5]
	s_nop 0
	buffer_load_dwordx4 v[160:163], v7, s[8:11], 0 offen offset:480
                                        ; implicit-def: $vgpr32_vgpr33_vgpr34_vgpr35
                                        ; implicit-def: $vgpr7
	s_xor_b64 exec, exec, s[4:5]
	s_cbranch_execnz .LBB1_41
; %bb.42:
	s_mov_b64 exec, s[16:17]
	buffer_load_dword v7, off, s[0:3], s32 offset:1540 ; 4-byte Folded Reload
	s_mov_b32 s4, 0x7f800000
	v_cmp_neq_f32_e64 s[6:7], |v50|, s4
	v_cmp_lt_i32_e64 s[4:5], -1, v50
	s_or_b64 s[4:5], s[6:7], s[4:5]
	s_mov_b32 s6, 0x7fffff80
	s_movk_i32 s27, 0xff80
                                        ; implicit-def: $vgpr247
                                        ; implicit-def: $vgpr245
                                        ; implicit-def: $vgpr43
                                        ; implicit-def: $vgpr41
                                        ; implicit-def: $vgpr27
                                        ; implicit-def: $vgpr45
                                        ; implicit-def: $vgpr31
                                        ; implicit-def: $vgpr29
                                        ; implicit-def: $vgpr35
                                        ; implicit-def: $vgpr33
                                        ; implicit-def: $vgpr39
                                        ; implicit-def: $vgpr37
                                        ; implicit-def: $vgpr167
                                        ; implicit-def: $vgpr165
                                        ; implicit-def: $vgpr179
                                        ; implicit-def: $vgpr177
                                        ; implicit-def: $vgpr183
                                        ; implicit-def: $vgpr181
                                        ; implicit-def: $vgpr195
                                        ; implicit-def: $vgpr193
                                        ; implicit-def: $vgpr199
                                        ; implicit-def: $vgpr197
                                        ; implicit-def: $vgpr211
                                        ; implicit-def: $vgpr209
                                        ; implicit-def: $vgpr215
                                        ; implicit-def: $vgpr213
                                        ; implicit-def: $vgpr227
                                        ; implicit-def: $vgpr225
                                        ; implicit-def: $vgpr231
                                        ; implicit-def: $vgpr229
                                        ; implicit-def: $vgpr243
                                        ; implicit-def: $vgpr241
                                        ; implicit-def: $vgpr239
                                        ; implicit-def: $vgpr237
                                        ; implicit-def: $vgpr21
                                        ; implicit-def: $vgpr11
                                        ; implicit-def: $vgpr59
                                        ; implicit-def: $vgpr25
                                        ; implicit-def: $vgpr63
                                        ; implicit-def: $vgpr61
                                        ; implicit-def: $vgpr75
                                        ; implicit-def: $vgpr73
                                        ; implicit-def: $vgpr79
                                        ; implicit-def: $vgpr77
                                        ; implicit-def: $vgpr91
                                        ; implicit-def: $vgpr89
                                        ; implicit-def: $vgpr95
                                        ; implicit-def: $vgpr93
                                        ; implicit-def: $vgpr107
                                        ; implicit-def: $vgpr105
                                        ; implicit-def: $vgpr111
                                        ; implicit-def: $vgpr109
                                        ; implicit-def: $vgpr123
                                        ; implicit-def: $vgpr121
                                        ; implicit-def: $vgpr127
                                        ; implicit-def: $vgpr125
                                        ; implicit-def: $vgpr139
                                        ; implicit-def: $vgpr137
                                        ; implicit-def: $vgpr143
                                        ; implicit-def: $vgpr141
                                        ; implicit-def: $vgpr155
                                        ; implicit-def: $vgpr153
                                        ; implicit-def: $vgpr17
	s_waitcnt vmcnt(0)
	v_sub_u32_e32 v7, s18, v7
	v_max_i32_e32 v7, -1, v7
	v_add_u32_e32 v7, 1, v7
	v_and_b32_e32 v10, 0xffffff80, v7
	buffer_load_dword v7, off, s[0:3], s32 offset:1628 ; 4-byte Folded Reload
	s_waitcnt vmcnt(0)
	v_add_u32_e32 v14, s18, v7
	v_add_u32_e32 v7, 0x7f, v14
	v_min_i32_e32 v7, v7, v68
	v_add_u32_e32 v7, 0x7f, v7
	v_ashrrev_i32_e32 v9, 31, v7
	v_lshrrev_b32_e32 v9, 25, v9
	v_add_u32_e32 v7, v7, v9
	v_and_b32_e32 v7, 0xffffff80, v7
	v_xad_u32 v13, v10, -1, v7
	v_cmp_gt_u32_e64 s[6:7], s6, v13
                                        ; implicit-def: $vgpr9
                                        ; implicit-def: $vgpr7
	s_and_saveexec_b64 s[8:9], s[6:7]
	s_xor_b64 s[20:21], exec, s[8:9]
	s_cbranch_execz .LBB1_140
; %bb.43:
	v_mul_lo_u32 v9, v159, v8
	v_mul_f32_e32 v7, 0x3f317218, v16
	v_sub_u32_e32 v9, s23, v9
	v_mul_f32_e32 v49, v7, v36
	v_xor_b32_e32 v7, s24, v15
	v_add_u32_e32 v11, 1, v159
	v_cmp_ge_u32_e64 s[6:7], v9, v8
	v_sub_u32_e32 v15, v9, v8
	v_cndmask_b32_e64 v11, v159, v11, s[6:7]
	v_cndmask_b32_e64 v9, v9, v15, s[6:7]
	v_add_u32_e32 v15, 1, v11
	v_cmp_ge_u32_e64 s[6:7], v9, v8
	v_cndmask_b32_e64 v8, v11, v15, s[6:7]
	buffer_load_dword v21, off, s[0:3], s32 offset:1544 ; 4-byte Folded Reload
	v_xor_b32_e32 v8, v8, v7
	v_sub_u32_e32 v7, v8, v7
	v_mad_i64_i32 v[8:9], s[6:7], v7, v22, 0
	v_lshlrev_b64 v[8:9], 1, v[8:9]
	v_add_co_u32_e64 v8, s[6:7], v2, v8
	v_addc_co_u32_e64 v9, s[6:7], v3, v9, s[6:7]
	v_mad_i64_i32 v[2:3], s[6:7], v7, v23, 0
	buffer_load_dword v22, off, s[0:3], s32 offset:1532 ; 4-byte Folded Reload
	buffer_load_dword v23, off, s[0:3], s32 offset:1536 ; 4-byte Folded Reload
	v_lshlrev_b64 v[2:3], 1, v[2:3]
	v_add_co_u32_e64 v7, s[6:7], v4, v2
	v_add_u32_e32 v2, -1, v68
	v_addc_co_u32_e64 v11, s[6:7], v5, v3, s[6:7]
	v_mad_i64_i32 v[4:5], s[6:7], v52, s14, 0
	v_lshlrev_b64 v[4:5], 1, v[4:5]
	v_lshrrev_b32_e32 v25, 2, v0
	buffer_store_dword v54, off, s[0:3], s32 offset:1684 ; 4-byte Folded Spill
	s_ashr_i32 s8, s18, 31
	s_lshr_b32 s8, s8, 27
	v_mov_b32_e32 v237, 0x20000
	s_add_i32 s29, s18, 0x80
	s_add_i32 s18, s18, s8
	v_mul_f32_e32 v51, 0x3fb8aa3b, v38
	v_accvgpr_write_b32 a15, 0
	v_accvgpr_write_b32 a14, 0
	;; [unrolled: 1-line block ×50, first 2 shown]
	s_waitcnt vmcnt(3)
	v_mul_lo_u32 v15, v21, v2
	v_add_u32_e32 v2, -1, v68
	v_mul_lo_u32 v17, v19, v2
	v_mad_i64_i32 v[2:3], s[6:7], v53, s14, 0
	v_add_co_u32_e64 v4, s[6:7], v8, v4
	v_addc_co_u32_e64 v5, s[6:7], v9, v5, s[6:7]
	v_lshlrev_b64 v[2:3], 1, v[2:3]
	v_add_co_u32_e64 v8, s[6:7], v7, v2
	v_addc_co_u32_e64 v9, s[6:7], v11, v3, s[6:7]
	v_mov_b32_e32 v3, v68
	v_addc_co_u32_e32 v2, vcc, -1, v3, vcc
	s_waitcnt vmcnt(2)
	v_add_u32_e32 v3, -1, v22
	v_accvgpr_read_b32 v7, a224
	v_mul_lo_u32 v3, v7, v3
	v_add3_u32 v16, v2, v3, 1
	v_mad_i64_i32 v[2:3], s[6:7], v24, s12, v[156:157]
	s_waitcnt vmcnt(1)
	v_mad_i64_i32 v[22:23], s[6:7], v20, s14, v[2:3]
	v_add_u32_e32 v2, 0x80, v13
	v_lshrrev_b32_e32 v2, 7, v2
	s_mov_b32 s6, 0x652b82fe
	v_accvgpr_write_b32 a205, v2
	v_cvt_f64_f32_e32 v[2:3], v50
	s_mov_b32 s7, 0x3ff71547
	v_mul_f64 v[2:3], v[2:3], s[6:7]
	v_cvt_f32_f64_e32 v2, v[2:3]
	v_mov_b32_e32 v50, 0xff800000
	v_lshlrev_b32_e32 v20, 3, v0
	v_add_lshl_u32 v236, v15, v12, 1
	v_lshlrev_b32_e32 v12, 7, v21
	v_cndmask_b32_e64 v66, v50, v2, s[4:5]
	v_lshrrev_b32_e32 v2, 1, v0
	v_and_b32_e32 v13, 24, v20
	buffer_store_dword v12, off, s[0:3], s32 offset:1556 ; 4-byte Folded Spill
	v_and_b32_e32 v12, 24, v25
	v_lshlrev_b32_e32 v15, 1, v0
	buffer_store_dword v13, off, s[0:3], s32 offset:1552 ; 4-byte Folded Spill
	buffer_store_dword v12, off, s[0:3], s32 offset:1456 ; 4-byte Folded Spill
	v_and_b32_e32 v12, 8, v15
	v_and_b32_e32 v2, 4, v2
	;; [unrolled: 1-line block ×3, first 2 shown]
	v_or3_b32 v2, v13, v2, v12
	v_readfirstlane_b32 s6, v55
	v_lshrrev_b32_e32 v3, 6, v0
	v_mul_u32_u24_e32 v12, 0x408, v1
	v_lshlrev_b32_e32 v2, 3, v2
	buffer_store_dword v3, off, s[0:3], s32 offset:1548 ; 4-byte Folded Spill
	v_add_lshl_u32 v3, s6, v3, 3
	v_add_lshl_u32 v12, v2, v12, 1
	v_mov_b32_e32 v2, v68
	buffer_store_dword v2, off, s[0:3], s32 offset:1636 ; 4-byte Folded Spill
	s_nop 0
	buffer_store_dword v3, off, s[0:3], s32 offset:1640 ; 4-byte Folded Spill
	v_lshlrev_b32_e32 v7, 2, v0
	v_min_i32_e32 v2, v14, v68
	buffer_store_dword v2, off, s[0:3], s32 offset:1560 ; 4-byte Folded Spill
	v_add_u32_e32 v2, 0x80, v7
	s_movk_i32 s6, 0x408
	buffer_store_dword v2, off, s[0:3], s32 offset:1564 ; 4-byte Folded Spill
	v_lshlrev_b32_e32 v2, 3, v6
	v_and_b32_e32 v11, 4, v7
	v_add_u32_e32 v13, 16, v25
	v_mad_u32_u24 v7, v1, s6, v2
	v_lshrrev_b32_e32 v13, 3, v13
	buffer_store_dword v7, off, s[0:3], s32 offset:1568 ; 4-byte Folded Spill
	v_lshrrev_b32_e32 v6, 3, v6
	v_and_b32_e32 v7, 0xc0, v15
	v_sub_u32_e32 v24, v13, v1
	v_add_lshl_u32 v238, v17, v54, 1
	v_and_b32_e32 v17, 7, v0
	v_mad_u32_u24 v14, v6, s6, v7
	s_movk_i32 s7, 0x810
	buffer_store_dword v14, off, s[0:3], s32 offset:1572 ; 4-byte Folded Spill
	v_mul_i32_i24_e32 v14, 0xfffffbf8, v24
	v_or_b32_e32 v7, v7, v17
	v_mad_i32_i24 v14, v24, s7, v14
	v_mad_u32_u24 v7, v6, s6, v7
	buffer_store_dword v14, off, s[0:3], s32 offset:1592 ; 4-byte Folded Spill
	buffer_store_dword v17, off, s[0:3], s32 offset:1596 ; 4-byte Folded Spill
	;; [unrolled: 1-line block ×3, first 2 shown]
	v_bfe_u32 v7, v0, 1, 5
	v_mul_u32_u24_e32 v7, 0x48, v7
	v_or_b32_e32 v7, v7, v11
	buffer_store_dword v7, off, s[0:3], s32 offset:1600 ; 4-byte Folded Spill
	v_or_b32_e32 v7, 7, v25
	v_mul_u32_u24_e32 v1, 0x900, v1
	v_and_b32_e32 v21, 3, v0
	buffer_store_dword v7, off, s[0:3], s32 offset:1632 ; 4-byte Folded Spill
	v_mul_u32_u24_e32 v7, 0x48, v6
	v_and_or_b32 v1, v2, 56, v1
	v_lshrrev_b32_e32 v2, 3, v0
	v_add_lshl_u32 v15, v1, v7, 1
	v_mul_u32_u24_e32 v1, 0x810, v21
	buffer_store_dword v2, off, s[0:3], s32 offset:1680 ; 4-byte Folded Spill
	v_or_b32_e32 v2, 28, v2
	v_lshl_add_u32 v1, v25, 4, v1
	v_sub_u32_e32 v2, v2, v6
	s_movk_i32 s6, 0x90
	buffer_store_dword v1, off, s[0:3], s32 offset:1608 ; 4-byte Folded Spill
	v_mov_b32_e32 v1, s22
	v_add_co_u32_e32 v0, vcc, s19, v0
	v_mad_u32_u24 v136, v2, s6, v15
	buffer_store_dword v25, off, s[0:3], s32 offset:1604 ; 4-byte Folded Spill
	buffer_store_dword v0, off, s[0:3], s32 offset:1612 ; 4-byte Folded Spill
	s_nop 0
	buffer_store_dword v1, off, s[0:3], s32 offset:1616 ; 4-byte Folded Spill
	buffer_store_dword v2, off, s[0:3], s32 offset:1620 ; 4-byte Folded Spill
	;; [unrolled: 1-line block ×3, first 2 shown]
	s_movk_i32 s6, 0x1200
	v_accvgpr_write_b32 a39, 0
	v_accvgpr_write_b32 a38, 0
	;; [unrolled: 1-line block ×75, first 2 shown]
	v_addc_co_u32_e32 v1, vcc, 0, v1, vcc
	buffer_store_dword v0, off, s[0:3], s32 offset:1576 ; 4-byte Folded Spill
	s_nop 0
	buffer_store_dword v1, off, s[0:3], s32 offset:1580 ; 4-byte Folded Spill
	buffer_store_dword v2, off, s[0:3], s32 offset:1584 ; 4-byte Folded Spill
	;; [unrolled: 1-line block ×3, first 2 shown]
	v_and_b32_e32 v0, 1, v18
	v_cmp_eq_u32_e32 vcc, 1, v0
	v_accvgpr_write_b32 a114, 0
	v_accvgpr_write_b32 a113, 0
	;; [unrolled: 1-line block ×3, first 2 shown]
	v_cndmask_b32_e64 v58, 0, 1.0, s[4:5]
	s_mov_b32 s28, 0xff800000
	v_accvgpr_write_b32 a241, v55
	v_mad_i32_i24 v13, v24, s7, v12
	v_mov_b32_e32 v239, v237
	s_ashr_i32 s30, s18, 5
	v_mov_b32_e32 v17, v237
	s_movk_i32 s31, 0x900
	v_mad_i32_i24 v14, v24, s6, v15
	v_mad_i32_i24 v72, v24, s6, v136
	s_add_i32 s34, s13, 0xb54cda56
	s_add_u32 s35, s13, 0x9e3779b9
	s_add_u32 s36, s15, 0xbb67ae85
	;; [unrolled: 1-line block ×10, first 2 shown]
	s_add_i32 s45, s15, 0x646e171e
	v_add_u32_e32 v52, 0x80, v10
	v_and_b32_e32 v53, 0x1f0, v20
	v_lshlrev_b32_e32 v55, 8, v19
	s_mov_b64 s[22:23], 0
	s_mov_b32 s46, 0xd2511f53
	s_mov_b32 s47, 0xcd9e8d57
	s_movk_i32 s48, 0xff
	s_mov_b32 s49, 0x1000504
	s_mov_b32 s50, 0x3020706
	v_mov_b32_e32 v54, 0x7fff
	v_mov_b32_e32 v64, 0x7fff0000
	s_mov_b32 s51, 0x5040100
	v_add3_u32 v0, v10, v3, v11
	v_add_u32_e32 v1, 64, v0
	v_mul_lo_u32 v1, v19, v1
	v_lshlrev_b32_e32 v1, 1, v1
	v_accvgpr_write_b32 a225, v1
	v_add_u32_e32 v1, 0x60, v0
	v_mul_lo_u32 v1, v19, v1
	v_lshlrev_b32_e32 v1, 1, v1
	v_accvgpr_write_b32 a226, v1
	;; [unrolled: 4-line block ×13, first 2 shown]
	v_add_u32_e32 v1, 2, v0
	v_mul_lo_u32 v1, v19, v1
	v_lshlrev_b32_e32 v1, 1, v1
	v_mul_lo_u32 v0, v19, v0
	v_accvgpr_write_b32 a238, v1
	v_add_lshl_u32 v1, v0, v19, 1
	v_lshlrev_b32_e32 v0, 1, v0
	v_accvgpr_write_b32 a239, v1
	v_accvgpr_write_b32 a240, v0
.LBB1_44:                               ; =>This Loop Header: Depth=1
                                        ;     Child Loop BB1_45 Depth 2
                                        ;     Child Loop BB1_47 Depth 2
	;; [unrolled: 1-line block ×40, first 2 shown]
	v_accvgpr_read_b32 v1, a31
	v_accvgpr_read_b32 v0, a30
	buffer_store_dword v0, off, s[0:3], s32 offset:1524 ; 4-byte Folded Spill
	s_nop 0
	buffer_store_dword v1, off, s[0:3], s32 offset:1528 ; 4-byte Folded Spill
	v_accvgpr_read_b32 v1, a47
	v_accvgpr_read_b32 v0, a46
	buffer_store_dword v0, off, s[0:3], s32 offset:1508 ; 4-byte Folded Spill
	s_nop 0
	buffer_store_dword v1, off, s[0:3], s32 offset:1512 ; 4-byte Folded Spill
	;; [unrolled: 5-line block ×9, first 2 shown]
	v_accvgpr_read_b32 v1, a65
	v_accvgpr_read_b32 v0, a64
	v_accvgpr_write_b32 a65, v1
	v_accvgpr_write_b32 a64, v0
	v_accvgpr_read_b32 v1, a81
	v_accvgpr_read_b32 v0, a80
	v_accvgpr_write_b32 a81, v1
	v_accvgpr_write_b32 a80, v0
	;; [unrolled: 4-line block ×4, first 2 shown]
	v_accvgpr_read_b32 v0, a241
	v_readfirstlane_b32 s24, v0
	buffer_load_dword v0, off, s[0:3], s32 offset:1604 ; 4-byte Folded Reload
	buffer_load_dword v1, off, s[0:3], s32 offset:1544 ; 4-byte Folded Reload
	s_lshl_b32 s6, s24, 4
	v_accvgpr_mov_b32 a199, a15
	v_accvgpr_mov_b32 a198, a14
	;; [unrolled: 1-line block ×54, first 2 shown]
	s_mov_b64 s[10:11], exec
	s_waitcnt vmcnt(1)
	v_add3_u32 v0, v0, v52, s6
	v_add_u32_e32 v0, 0xffffff80, v0
	s_waitcnt vmcnt(0)
	v_mul_lo_u32 v0, v0, v1
	buffer_load_dword v1, off, s[0:3], s32 offset:1552 ; 4-byte Folded Reload
	s_waitcnt vmcnt(0)
	v_add_lshl_u32 v3, v0, v1, 1
.LBB1_45:                               ;   Parent Loop BB1_44 Depth=1
                                        ; =>  This Inner Loop Header: Depth=2
	v_readfirstlane_b32 s16, v4
	v_readfirstlane_b32 s17, v5
	;; [unrolled: 1-line block ×4, first 2 shown]
	v_cmp_eq_u64_e64 s[6:7], s[16:17], v[4:5]
	v_cmp_eq_u64_e64 s[8:9], s[18:19], v[236:237]
	s_and_b64 s[6:7], s[6:7], s[8:9]
	s_and_saveexec_b64 s[6:7], s[6:7]
	s_nop 0
	buffer_load_dwordx4 v[26:29], v3, s[16:19], 0 offen
	s_xor_b64 exec, exec, s[6:7]
	s_cbranch_execnz .LBB1_45
; %bb.46:                               ;   in Loop: Header=BB1_44 Depth=1
	s_mov_b64 exec, s[10:11]
	buffer_load_dword v0, off, s[0:3], s32 offset:1556 ; 4-byte Folded Reload
	s_mov_b64 s[10:11], exec
	s_waitcnt vmcnt(0)
	v_add_u32_e32 v6, v3, v0
.LBB1_47:                               ;   Parent Loop BB1_44 Depth=1
                                        ; =>  This Inner Loop Header: Depth=2
	v_readfirstlane_b32 s16, v4
	v_readfirstlane_b32 s17, v5
	;; [unrolled: 1-line block ×4, first 2 shown]
	v_cmp_eq_u64_e64 s[6:7], s[16:17], v[4:5]
	v_cmp_eq_u64_e64 s[8:9], s[18:19], v[236:237]
	s_and_b64 s[6:7], s[6:7], s[8:9]
	s_and_saveexec_b64 s[6:7], s[6:7]
	s_nop 0
	buffer_load_dwordx4 v[30:33], v6, s[16:19], 0 offen
	s_xor_b64 exec, exec, s[6:7]
	s_cbranch_execnz .LBB1_47
; %bb.48:                               ;   in Loop: Header=BB1_44 Depth=1
	s_mov_b64 exec, s[10:11]
	buffer_load_dword v0, off, s[0:3], s32 offset:1608 ; 4-byte Folded Reload
	s_mov_b64 s[10:11], exec
	s_waitcnt vmcnt(0)
	v_lshl_add_u32 v2, s24, 8, v0
	ds_write_b128 v2, v[26:29]
	ds_write_b128 v2, v[30:33] offset:1024
.LBB1_49:                               ;   Parent Loop BB1_44 Depth=1
                                        ; =>  This Inner Loop Header: Depth=2
	v_readfirstlane_b32 s16, v4
	v_readfirstlane_b32 s17, v5
	;; [unrolled: 1-line block ×4, first 2 shown]
	v_cmp_eq_u64_e64 s[6:7], s[16:17], v[4:5]
	v_cmp_eq_u64_e64 s[8:9], s[18:19], v[236:237]
	s_and_b64 s[6:7], s[6:7], s[8:9]
	s_and_saveexec_b64 s[6:7], s[6:7]
	s_nop 0
	buffer_load_dwordx4 v[26:29], v3, s[16:19], 0 offen offset:64
	s_xor_b64 exec, exec, s[6:7]
	s_cbranch_execnz .LBB1_49
; %bb.50:                               ;   in Loop: Header=BB1_44 Depth=1
	s_mov_b64 exec, s[10:11]
	v_add_u32_e32 v0, 64, v6
	s_mov_b64 s[10:11], exec
.LBB1_51:                               ;   Parent Loop BB1_44 Depth=1
                                        ; =>  This Inner Loop Header: Depth=2
	v_readfirstlane_b32 s16, v4
	v_readfirstlane_b32 s17, v5
	;; [unrolled: 1-line block ×4, first 2 shown]
	v_cmp_eq_u64_e64 s[6:7], s[16:17], v[4:5]
	v_cmp_eq_u64_e64 s[8:9], s[18:19], v[236:237]
	s_and_b64 s[6:7], s[6:7], s[8:9]
	s_and_saveexec_b64 s[6:7], s[6:7]
	s_nop 0
	buffer_load_dwordx4 v[30:33], v0, s[16:19], 0 offen
                                        ; implicit-def: $vgpr0
	s_xor_b64 exec, exec, s[6:7]
	s_cbranch_execnz .LBB1_51
; %bb.52:                               ;   in Loop: Header=BB1_44 Depth=1
	s_mov_b64 exec, s[10:11]
	s_waitcnt lgkmcnt(0)
	s_barrier
	ds_read_b128 v[18:21], v12
	s_mov_b64 s[10:11], exec
	s_waitcnt lgkmcnt(0)
	v_mfma_f32_32x32x8bf16_1k a[48:63], v[18:19], a[132:133], 0
	v_mfma_f32_32x32x8bf16_1k a[48:63], v[20:21], a[134:135], a[48:63]
	ds_read_b128 v[18:21], v12 offset:512
	s_waitcnt lgkmcnt(0)
	v_mfma_f32_32x32x8bf16_1k a[32:47], v[18:19], a[132:133], 0
	v_mfma_f32_32x32x8bf16_1k a[32:47], v[20:21], a[134:135], a[32:47]
	ds_read_b128 v[18:21], v12 offset:1024
	;; [unrolled: 4-line block ×3, first 2 shown]
	s_waitcnt lgkmcnt(0)
	v_mfma_f32_32x32x8bf16_1k a[0:15], v[18:19], a[132:133], 0
	v_mfma_f32_32x32x8bf16_1k a[0:15], v[20:21], a[134:135], a[0:15]
	ds_read_b128 v[18:21], v13
	s_waitcnt lgkmcnt(0)
	v_mfma_f32_32x32x8bf16_1k a[48:63], v[18:19], a[128:129], a[48:63]
	v_mfma_f32_32x32x8bf16_1k a[48:63], v[20:21], a[130:131], a[48:63]
	ds_read_b128 v[18:21], v13 offset:512
	s_waitcnt lgkmcnt(0)
	v_mfma_f32_32x32x8bf16_1k a[32:47], v[18:19], a[128:129], a[32:47]
	v_mfma_f32_32x32x8bf16_1k a[32:47], v[20:21], a[130:131], a[32:47]
	ds_read_b128 v[18:21], v13 offset:1024
	;; [unrolled: 4-line block ×3, first 2 shown]
	; sched_group_barrier mask(0x00000100) size(2) SyncID(0)
	; sched_group_barrier mask(0x00000008) size(2) SyncID(0)
	;; [unrolled: 1-line block ×5, first 2 shown]
	s_waitcnt lgkmcnt(0)
	s_barrier
	s_waitcnt vmcnt(1)
	ds_write_b128 v2, v[26:29]
	s_waitcnt vmcnt(0)
	ds_write_b128 v2, v[30:33] offset:1024
	v_mfma_f32_32x32x8bf16_1k a[0:15], v[18:19], a[128:129], a[0:15]
	v_mfma_f32_32x32x8bf16_1k a[0:15], v[20:21], a[130:131], a[0:15]
	; sched_group_barrier mask(0x00000008) size(4) SyncID(0)
	; sched_group_barrier mask(0x00000100) size(2) SyncID(0)
	;; [unrolled: 1-line block ×7, first 2 shown]
.LBB1_53:                               ;   Parent Loop BB1_44 Depth=1
                                        ; =>  This Inner Loop Header: Depth=2
	v_readfirstlane_b32 s16, v4
	v_readfirstlane_b32 s17, v5
	;; [unrolled: 1-line block ×4, first 2 shown]
	v_cmp_eq_u64_e64 s[6:7], s[16:17], v[4:5]
	v_cmp_eq_u64_e64 s[8:9], s[18:19], v[236:237]
	s_and_b64 s[6:7], s[6:7], s[8:9]
	s_and_saveexec_b64 s[6:7], s[6:7]
	s_nop 0
	buffer_load_dwordx4 v[26:29], v3, s[16:19], 0 offen offset:128
	s_xor_b64 exec, exec, s[6:7]
	s_cbranch_execnz .LBB1_53
; %bb.54:                               ;   in Loop: Header=BB1_44 Depth=1
	s_mov_b64 exec, s[10:11]
	v_add_u32_e32 v0, 0x80, v6
	s_mov_b64 s[10:11], exec
.LBB1_55:                               ;   Parent Loop BB1_44 Depth=1
                                        ; =>  This Inner Loop Header: Depth=2
	v_readfirstlane_b32 s16, v4
	v_readfirstlane_b32 s17, v5
	;; [unrolled: 1-line block ×4, first 2 shown]
	v_cmp_eq_u64_e64 s[6:7], s[16:17], v[4:5]
	v_cmp_eq_u64_e64 s[8:9], s[18:19], v[236:237]
	s_and_b64 s[6:7], s[6:7], s[8:9]
	s_and_saveexec_b64 s[6:7], s[6:7]
	s_nop 0
	buffer_load_dwordx4 v[30:33], v0, s[16:19], 0 offen
                                        ; implicit-def: $vgpr0
	s_xor_b64 exec, exec, s[6:7]
	s_cbranch_execnz .LBB1_55
; %bb.56:                               ;   in Loop: Header=BB1_44 Depth=1
	s_mov_b64 exec, s[10:11]
	s_waitcnt lgkmcnt(0)
	s_barrier
	ds_read_b128 v[18:21], v12
	s_mov_b64 s[10:11], exec
	s_waitcnt lgkmcnt(0)
	v_mfma_f32_32x32x8bf16_1k a[48:63], v[18:19], a[136:137], a[48:63]
	v_mfma_f32_32x32x8bf16_1k a[48:63], v[20:21], a[138:139], a[48:63]
	ds_read_b128 v[18:21], v12 offset:512
	s_waitcnt lgkmcnt(0)
	v_mfma_f32_32x32x8bf16_1k a[32:47], v[18:19], a[136:137], a[32:47]
	v_mfma_f32_32x32x8bf16_1k a[32:47], v[20:21], a[138:139], a[32:47]
	ds_read_b128 v[18:21], v12 offset:1024
	;; [unrolled: 4-line block ×3, first 2 shown]
	s_waitcnt lgkmcnt(0)
	v_mfma_f32_32x32x8bf16_1k a[0:15], v[18:19], a[136:137], a[0:15]
	v_mfma_f32_32x32x8bf16_1k a[0:15], v[20:21], a[138:139], a[0:15]
	ds_read_b128 v[18:21], v13
	s_waitcnt lgkmcnt(0)
	v_mfma_f32_32x32x8bf16_1k a[48:63], v[18:19], a[140:141], a[48:63]
	v_mfma_f32_32x32x8bf16_1k a[48:63], v[20:21], a[142:143], a[48:63]
	ds_read_b128 v[18:21], v13 offset:512
	s_waitcnt lgkmcnt(0)
	v_mfma_f32_32x32x8bf16_1k a[32:47], v[18:19], a[140:141], a[32:47]
	v_mfma_f32_32x32x8bf16_1k a[32:47], v[20:21], a[142:143], a[32:47]
	ds_read_b128 v[18:21], v13 offset:1024
	;; [unrolled: 4-line block ×3, first 2 shown]
	; sched_group_barrier mask(0x00000100) size(2) SyncID(0)
	; sched_group_barrier mask(0x00000008) size(2) SyncID(0)
	;; [unrolled: 1-line block ×5, first 2 shown]
	s_waitcnt lgkmcnt(0)
	s_barrier
	s_waitcnt vmcnt(1)
	ds_write_b128 v2, v[26:29]
	s_waitcnt vmcnt(0)
	ds_write_b128 v2, v[30:33] offset:1024
	v_mfma_f32_32x32x8bf16_1k a[0:15], v[18:19], a[140:141], a[0:15]
	v_mfma_f32_32x32x8bf16_1k a[0:15], v[20:21], a[142:143], a[0:15]
	; sched_group_barrier mask(0x00000008) size(4) SyncID(0)
	; sched_group_barrier mask(0x00000100) size(2) SyncID(0)
	;; [unrolled: 1-line block ×7, first 2 shown]
.LBB1_57:                               ;   Parent Loop BB1_44 Depth=1
                                        ; =>  This Inner Loop Header: Depth=2
	v_readfirstlane_b32 s16, v4
	v_readfirstlane_b32 s17, v5
	;; [unrolled: 1-line block ×4, first 2 shown]
	v_cmp_eq_u64_e64 s[6:7], s[16:17], v[4:5]
	v_cmp_eq_u64_e64 s[8:9], s[18:19], v[236:237]
	s_and_b64 s[6:7], s[6:7], s[8:9]
	s_and_saveexec_b64 s[6:7], s[6:7]
	s_nop 0
	buffer_load_dwordx4 v[26:29], v3, s[16:19], 0 offen offset:192
	s_xor_b64 exec, exec, s[6:7]
	s_cbranch_execnz .LBB1_57
; %bb.58:                               ;   in Loop: Header=BB1_44 Depth=1
	s_mov_b64 exec, s[10:11]
	v_add_u32_e32 v0, 0xc0, v6
	s_mov_b64 s[10:11], exec
.LBB1_59:                               ;   Parent Loop BB1_44 Depth=1
                                        ; =>  This Inner Loop Header: Depth=2
	v_readfirstlane_b32 s16, v4
	v_readfirstlane_b32 s17, v5
	;; [unrolled: 1-line block ×4, first 2 shown]
	v_cmp_eq_u64_e64 s[6:7], s[16:17], v[4:5]
	v_cmp_eq_u64_e64 s[8:9], s[18:19], v[236:237]
	s_and_b64 s[6:7], s[6:7], s[8:9]
	s_and_saveexec_b64 s[6:7], s[6:7]
	s_nop 0
	buffer_load_dwordx4 v[30:33], v0, s[16:19], 0 offen
                                        ; implicit-def: $vgpr0
	s_xor_b64 exec, exec, s[6:7]
	s_cbranch_execnz .LBB1_59
; %bb.60:                               ;   in Loop: Header=BB1_44 Depth=1
	s_mov_b64 exec, s[10:11]
	s_waitcnt lgkmcnt(0)
	s_barrier
	ds_read_b128 v[18:21], v12
	s_mov_b64 s[10:11], exec
	s_waitcnt lgkmcnt(0)
	v_mfma_f32_32x32x8bf16_1k a[48:63], v[18:19], a[144:145], a[48:63]
	v_mfma_f32_32x32x8bf16_1k a[48:63], v[20:21], a[146:147], a[48:63]
	ds_read_b128 v[18:21], v12 offset:512
	s_waitcnt lgkmcnt(0)
	v_mfma_f32_32x32x8bf16_1k a[32:47], v[18:19], a[144:145], a[32:47]
	v_mfma_f32_32x32x8bf16_1k a[32:47], v[20:21], a[146:147], a[32:47]
	ds_read_b128 v[18:21], v12 offset:1024
	;; [unrolled: 4-line block ×3, first 2 shown]
	s_waitcnt lgkmcnt(0)
	v_mfma_f32_32x32x8bf16_1k a[0:15], v[18:19], a[144:145], a[0:15]
	v_mfma_f32_32x32x8bf16_1k a[0:15], v[20:21], a[146:147], a[0:15]
	ds_read_b128 v[18:21], v13
	s_waitcnt lgkmcnt(0)
	v_mfma_f32_32x32x8bf16_1k a[48:63], v[18:19], a[148:149], a[48:63]
	v_mfma_f32_32x32x8bf16_1k a[48:63], v[20:21], a[150:151], a[48:63]
	ds_read_b128 v[18:21], v13 offset:512
	s_waitcnt lgkmcnt(0)
	v_mfma_f32_32x32x8bf16_1k a[32:47], v[18:19], a[148:149], a[32:47]
	v_mfma_f32_32x32x8bf16_1k a[32:47], v[20:21], a[150:151], a[32:47]
	ds_read_b128 v[18:21], v13 offset:1024
	;; [unrolled: 4-line block ×3, first 2 shown]
	; sched_group_barrier mask(0x00000100) size(2) SyncID(0)
	; sched_group_barrier mask(0x00000008) size(2) SyncID(0)
	;; [unrolled: 1-line block ×5, first 2 shown]
	s_waitcnt lgkmcnt(0)
	s_barrier
	s_waitcnt vmcnt(1)
	ds_write_b128 v2, v[26:29]
	s_waitcnt vmcnt(0)
	ds_write_b128 v2, v[30:33] offset:1024
	v_mfma_f32_32x32x8bf16_1k a[0:15], v[18:19], a[148:149], a[0:15]
	v_mfma_f32_32x32x8bf16_1k a[0:15], v[20:21], a[150:151], a[0:15]
	; sched_group_barrier mask(0x00000008) size(4) SyncID(0)
	; sched_group_barrier mask(0x00000100) size(2) SyncID(0)
	;; [unrolled: 1-line block ×7, first 2 shown]
.LBB1_61:                               ;   Parent Loop BB1_44 Depth=1
                                        ; =>  This Inner Loop Header: Depth=2
	v_readfirstlane_b32 s16, v4
	v_readfirstlane_b32 s17, v5
	;; [unrolled: 1-line block ×4, first 2 shown]
	v_cmp_eq_u64_e64 s[6:7], s[16:17], v[4:5]
	v_cmp_eq_u64_e64 s[8:9], s[18:19], v[236:237]
	s_and_b64 s[6:7], s[6:7], s[8:9]
	s_and_saveexec_b64 s[6:7], s[6:7]
	s_nop 0
	buffer_load_dwordx4 v[26:29], v3, s[16:19], 0 offen offset:256
	s_xor_b64 exec, exec, s[6:7]
	s_cbranch_execnz .LBB1_61
; %bb.62:                               ;   in Loop: Header=BB1_44 Depth=1
	s_mov_b64 exec, s[10:11]
	v_add_u32_e32 v0, 0x100, v6
	s_mov_b64 s[10:11], exec
.LBB1_63:                               ;   Parent Loop BB1_44 Depth=1
                                        ; =>  This Inner Loop Header: Depth=2
	v_readfirstlane_b32 s16, v4
	v_readfirstlane_b32 s17, v5
	;; [unrolled: 1-line block ×4, first 2 shown]
	v_cmp_eq_u64_e64 s[6:7], s[16:17], v[4:5]
	v_cmp_eq_u64_e64 s[8:9], s[18:19], v[236:237]
	s_and_b64 s[6:7], s[6:7], s[8:9]
	s_and_saveexec_b64 s[6:7], s[6:7]
	s_nop 0
	buffer_load_dwordx4 v[30:33], v0, s[16:19], 0 offen
                                        ; implicit-def: $vgpr0
	s_xor_b64 exec, exec, s[6:7]
	s_cbranch_execnz .LBB1_63
; %bb.64:                               ;   in Loop: Header=BB1_44 Depth=1
	s_mov_b64 exec, s[10:11]
	s_waitcnt lgkmcnt(0)
	s_barrier
	ds_read_b128 v[18:21], v12
	s_mov_b64 s[10:11], exec
	s_waitcnt lgkmcnt(0)
	v_mfma_f32_32x32x8bf16_1k a[48:63], v[18:19], a[152:153], a[48:63]
	v_mfma_f32_32x32x8bf16_1k a[48:63], v[20:21], a[154:155], a[48:63]
	ds_read_b128 v[18:21], v12 offset:512
	s_waitcnt lgkmcnt(0)
	v_mfma_f32_32x32x8bf16_1k a[32:47], v[18:19], a[152:153], a[32:47]
	v_mfma_f32_32x32x8bf16_1k a[32:47], v[20:21], a[154:155], a[32:47]
	ds_read_b128 v[18:21], v12 offset:1024
	;; [unrolled: 4-line block ×3, first 2 shown]
	s_waitcnt lgkmcnt(0)
	v_mfma_f32_32x32x8bf16_1k a[0:15], v[18:19], a[152:153], a[0:15]
	v_mfma_f32_32x32x8bf16_1k a[0:15], v[20:21], a[154:155], a[0:15]
	ds_read_b128 v[18:21], v13
	s_waitcnt lgkmcnt(0)
	v_mfma_f32_32x32x8bf16_1k a[48:63], v[18:19], a[156:157], a[48:63]
	v_mfma_f32_32x32x8bf16_1k a[48:63], v[20:21], a[158:159], a[48:63]
	ds_read_b128 v[18:21], v13 offset:512
	s_waitcnt lgkmcnt(0)
	v_mfma_f32_32x32x8bf16_1k a[32:47], v[18:19], a[156:157], a[32:47]
	v_mfma_f32_32x32x8bf16_1k a[32:47], v[20:21], a[158:159], a[32:47]
	ds_read_b128 v[18:21], v13 offset:1024
	;; [unrolled: 4-line block ×3, first 2 shown]
	; sched_group_barrier mask(0x00000100) size(2) SyncID(0)
	; sched_group_barrier mask(0x00000008) size(2) SyncID(0)
	;; [unrolled: 1-line block ×5, first 2 shown]
	s_waitcnt lgkmcnt(0)
	s_barrier
	s_waitcnt vmcnt(1)
	ds_write_b128 v2, v[26:29]
	s_waitcnt vmcnt(0)
	ds_write_b128 v2, v[30:33] offset:1024
	v_mfma_f32_32x32x8bf16_1k a[0:15], v[18:19], a[156:157], a[0:15]
	v_mfma_f32_32x32x8bf16_1k a[0:15], v[20:21], a[158:159], a[0:15]
	; sched_group_barrier mask(0x00000008) size(4) SyncID(0)
	; sched_group_barrier mask(0x00000100) size(2) SyncID(0)
	;; [unrolled: 1-line block ×7, first 2 shown]
.LBB1_65:                               ;   Parent Loop BB1_44 Depth=1
                                        ; =>  This Inner Loop Header: Depth=2
	v_readfirstlane_b32 s16, v4
	v_readfirstlane_b32 s17, v5
	;; [unrolled: 1-line block ×4, first 2 shown]
	v_cmp_eq_u64_e64 s[6:7], s[16:17], v[4:5]
	v_cmp_eq_u64_e64 s[8:9], s[18:19], v[236:237]
	s_and_b64 s[6:7], s[6:7], s[8:9]
	s_and_saveexec_b64 s[6:7], s[6:7]
	s_nop 0
	buffer_load_dwordx4 v[26:29], v3, s[16:19], 0 offen offset:320
	s_xor_b64 exec, exec, s[6:7]
	s_cbranch_execnz .LBB1_65
; %bb.66:                               ;   in Loop: Header=BB1_44 Depth=1
	s_mov_b64 exec, s[10:11]
	v_add_u32_e32 v0, 0x140, v6
	s_mov_b64 s[10:11], exec
.LBB1_67:                               ;   Parent Loop BB1_44 Depth=1
                                        ; =>  This Inner Loop Header: Depth=2
	v_readfirstlane_b32 s16, v4
	v_readfirstlane_b32 s17, v5
	v_readfirstlane_b32 s18, v236
	v_readfirstlane_b32 s19, v237
	v_cmp_eq_u64_e64 s[6:7], s[16:17], v[4:5]
	v_cmp_eq_u64_e64 s[8:9], s[18:19], v[236:237]
	s_and_b64 s[6:7], s[6:7], s[8:9]
	s_and_saveexec_b64 s[6:7], s[6:7]
	s_nop 0
	buffer_load_dwordx4 v[30:33], v0, s[16:19], 0 offen
                                        ; implicit-def: $vgpr0
	s_xor_b64 exec, exec, s[6:7]
	s_cbranch_execnz .LBB1_67
; %bb.68:                               ;   in Loop: Header=BB1_44 Depth=1
	s_mov_b64 exec, s[10:11]
	s_waitcnt lgkmcnt(0)
	s_barrier
	ds_read_b128 v[18:21], v12
	s_mov_b64 s[10:11], exec
	s_waitcnt lgkmcnt(0)
	v_mfma_f32_32x32x8bf16_1k a[48:63], v[18:19], a[160:161], a[48:63]
	v_mfma_f32_32x32x8bf16_1k a[48:63], v[20:21], a[162:163], a[48:63]
	ds_read_b128 v[18:21], v12 offset:512
	s_waitcnt lgkmcnt(0)
	v_mfma_f32_32x32x8bf16_1k a[32:47], v[18:19], a[160:161], a[32:47]
	v_mfma_f32_32x32x8bf16_1k a[32:47], v[20:21], a[162:163], a[32:47]
	ds_read_b128 v[18:21], v12 offset:1024
	;; [unrolled: 4-line block ×3, first 2 shown]
	s_waitcnt lgkmcnt(0)
	v_mfma_f32_32x32x8bf16_1k a[0:15], v[18:19], a[160:161], a[0:15]
	v_mfma_f32_32x32x8bf16_1k a[0:15], v[20:21], a[162:163], a[0:15]
	ds_read_b128 v[18:21], v13
	s_waitcnt lgkmcnt(0)
	v_mfma_f32_32x32x8bf16_1k a[48:63], v[18:19], a[164:165], a[48:63]
	v_mfma_f32_32x32x8bf16_1k a[48:63], v[20:21], a[166:167], a[48:63]
	ds_read_b128 v[18:21], v13 offset:512
	s_waitcnt lgkmcnt(0)
	v_mfma_f32_32x32x8bf16_1k a[32:47], v[18:19], a[164:165], a[32:47]
	v_mfma_f32_32x32x8bf16_1k a[32:47], v[20:21], a[166:167], a[32:47]
	ds_read_b128 v[18:21], v13 offset:1024
	;; [unrolled: 4-line block ×3, first 2 shown]
	; sched_group_barrier mask(0x00000100) size(2) SyncID(0)
	; sched_group_barrier mask(0x00000008) size(2) SyncID(0)
	;; [unrolled: 1-line block ×5, first 2 shown]
	s_waitcnt lgkmcnt(0)
	s_barrier
	s_waitcnt vmcnt(1)
	ds_write_b128 v2, v[26:29]
	s_waitcnt vmcnt(0)
	ds_write_b128 v2, v[30:33] offset:1024
	v_mfma_f32_32x32x8bf16_1k a[0:15], v[18:19], a[164:165], a[0:15]
	v_mfma_f32_32x32x8bf16_1k a[0:15], v[20:21], a[166:167], a[0:15]
	; sched_group_barrier mask(0x00000008) size(4) SyncID(0)
	; sched_group_barrier mask(0x00000100) size(2) SyncID(0)
	;; [unrolled: 1-line block ×7, first 2 shown]
.LBB1_69:                               ;   Parent Loop BB1_44 Depth=1
                                        ; =>  This Inner Loop Header: Depth=2
	v_readfirstlane_b32 s16, v4
	v_readfirstlane_b32 s17, v5
	v_readfirstlane_b32 s18, v236
	v_readfirstlane_b32 s19, v237
	v_cmp_eq_u64_e64 s[6:7], s[16:17], v[4:5]
	v_cmp_eq_u64_e64 s[8:9], s[18:19], v[236:237]
	s_and_b64 s[6:7], s[6:7], s[8:9]
	s_and_saveexec_b64 s[6:7], s[6:7]
	s_nop 0
	buffer_load_dwordx4 v[26:29], v3, s[16:19], 0 offen offset:384
	s_xor_b64 exec, exec, s[6:7]
	s_cbranch_execnz .LBB1_69
; %bb.70:                               ;   in Loop: Header=BB1_44 Depth=1
	s_mov_b64 exec, s[10:11]
	v_add_u32_e32 v0, 0x180, v6
	s_mov_b64 s[10:11], exec
.LBB1_71:                               ;   Parent Loop BB1_44 Depth=1
                                        ; =>  This Inner Loop Header: Depth=2
	v_readfirstlane_b32 s16, v4
	v_readfirstlane_b32 s17, v5
	;; [unrolled: 1-line block ×4, first 2 shown]
	v_cmp_eq_u64_e64 s[6:7], s[16:17], v[4:5]
	v_cmp_eq_u64_e64 s[8:9], s[18:19], v[236:237]
	s_and_b64 s[6:7], s[6:7], s[8:9]
	s_and_saveexec_b64 s[6:7], s[6:7]
	s_nop 0
	buffer_load_dwordx4 v[30:33], v0, s[16:19], 0 offen
                                        ; implicit-def: $vgpr0
	s_xor_b64 exec, exec, s[6:7]
	s_cbranch_execnz .LBB1_71
; %bb.72:                               ;   in Loop: Header=BB1_44 Depth=1
	s_mov_b64 exec, s[10:11]
	s_waitcnt lgkmcnt(0)
	s_barrier
	ds_read_b128 v[18:21], v12
	s_mov_b64 s[10:11], exec
	s_waitcnt lgkmcnt(0)
	v_mfma_f32_32x32x8bf16_1k a[48:63], v[18:19], a[168:169], a[48:63]
	v_mfma_f32_32x32x8bf16_1k a[48:63], v[20:21], a[170:171], a[48:63]
	ds_read_b128 v[18:21], v12 offset:512
	s_waitcnt lgkmcnt(0)
	v_mfma_f32_32x32x8bf16_1k a[32:47], v[18:19], a[168:169], a[32:47]
	v_mfma_f32_32x32x8bf16_1k a[32:47], v[20:21], a[170:171], a[32:47]
	ds_read_b128 v[18:21], v12 offset:1024
	s_waitcnt lgkmcnt(0)
	v_mfma_f32_32x32x8bf16_1k a[16:31], v[18:19], a[168:169], a[16:31]
	v_mfma_f32_32x32x8bf16_1k a[16:31], v[20:21], a[170:171], a[16:31]
	ds_read_b128 v[18:21], v12 offset:1536
	s_waitcnt lgkmcnt(0)
	v_mfma_f32_32x32x8bf16_1k a[0:15], v[18:19], a[168:169], a[0:15]
	v_mfma_f32_32x32x8bf16_1k a[0:15], v[20:21], a[170:171], a[0:15]
	ds_read_b128 v[18:21], v13
	s_waitcnt lgkmcnt(0)
	v_mfma_f32_32x32x8bf16_1k a[48:63], v[18:19], a[172:173], a[48:63]
	v_mfma_f32_32x32x8bf16_1k a[48:63], v[20:21], a[174:175], a[48:63]
	ds_read_b128 v[18:21], v13 offset:512
	s_waitcnt lgkmcnt(0)
	v_mfma_f32_32x32x8bf16_1k a[32:47], v[18:19], a[172:173], a[32:47]
	v_mfma_f32_32x32x8bf16_1k a[32:47], v[20:21], a[174:175], a[32:47]
	ds_read_b128 v[18:21], v13 offset:1024
	;; [unrolled: 4-line block ×3, first 2 shown]
	; sched_group_barrier mask(0x00000100) size(2) SyncID(0)
	; sched_group_barrier mask(0x00000008) size(2) SyncID(0)
	;; [unrolled: 1-line block ×5, first 2 shown]
	s_waitcnt lgkmcnt(0)
	s_barrier
	s_waitcnt vmcnt(1)
	ds_write_b128 v2, v[26:29]
	s_waitcnt vmcnt(0)
	ds_write_b128 v2, v[30:33] offset:1024
	v_mfma_f32_32x32x8bf16_1k a[0:15], v[18:19], a[172:173], a[0:15]
	v_mfma_f32_32x32x8bf16_1k a[0:15], v[20:21], a[174:175], a[0:15]
	; sched_group_barrier mask(0x00000008) size(4) SyncID(0)
	; sched_group_barrier mask(0x00000100) size(2) SyncID(0)
	; sched_group_barrier mask(0x00000008) size(2) SyncID(0)
	; sched_group_barrier mask(0x00000100) size(1) SyncID(0)
	; sched_group_barrier mask(0x00000008) size(2) SyncID(0)
	; sched_group_barrier mask(0x00000100) size(1) SyncID(0)
	; sched_group_barrier mask(0x00000008) size(4) SyncID(0)
.LBB1_73:                               ;   Parent Loop BB1_44 Depth=1
                                        ; =>  This Inner Loop Header: Depth=2
	v_readfirstlane_b32 s16, v4
	v_readfirstlane_b32 s17, v5
	;; [unrolled: 1-line block ×4, first 2 shown]
	v_cmp_eq_u64_e64 s[6:7], s[16:17], v[4:5]
	v_cmp_eq_u64_e64 s[8:9], s[18:19], v[236:237]
	s_and_b64 s[6:7], s[6:7], s[8:9]
	s_and_saveexec_b64 s[6:7], s[6:7]
	s_nop 0
	buffer_load_dwordx4 v[176:179], v3, s[16:19], 0 offen offset:448
                                        ; implicit-def: $vgpr3
	s_xor_b64 exec, exec, s[6:7]
	s_cbranch_execnz .LBB1_73
; %bb.74:                               ;   in Loop: Header=BB1_44 Depth=1
	s_mov_b64 exec, s[10:11]
	v_add_u32_e32 v0, 0x1c0, v6
	s_mov_b64 s[10:11], exec
.LBB1_75:                               ;   Parent Loop BB1_44 Depth=1
                                        ; =>  This Inner Loop Header: Depth=2
	v_readfirstlane_b32 s16, v4
	v_readfirstlane_b32 s17, v5
	v_readfirstlane_b32 s18, v236
	v_readfirstlane_b32 s19, v237
	v_cmp_eq_u64_e64 s[6:7], s[16:17], v[4:5]
	v_cmp_eq_u64_e64 s[8:9], s[18:19], v[236:237]
	s_and_b64 s[6:7], s[6:7], s[8:9]
	s_and_saveexec_b64 s[6:7], s[6:7]
	s_nop 0
	buffer_load_dwordx4 v[180:183], v0, s[16:19], 0 offen
                                        ; implicit-def: $vgpr0
	s_xor_b64 exec, exec, s[6:7]
	s_cbranch_execnz .LBB1_75
; %bb.76:                               ;   in Loop: Header=BB1_44 Depth=1
	s_mov_b64 exec, s[10:11]
	v_accvgpr_read_b32 v0, a240
	v_add_u32_e32 v0, v53, v0
	s_mov_b64 s[10:11], exec
.LBB1_77:                               ;   Parent Loop BB1_44 Depth=1
                                        ; =>  This Inner Loop Header: Depth=2
	v_readfirstlane_b32 s16, v8
	v_readfirstlane_b32 s17, v9
	v_readfirstlane_b32 s18, v238
	v_readfirstlane_b32 s19, v239
	v_cmp_eq_u64_e64 s[6:7], s[16:17], v[8:9]
	v_cmp_eq_u64_e64 s[8:9], s[18:19], v[238:239]
	s_and_b64 s[6:7], s[6:7], s[8:9]
	s_and_saveexec_b64 s[6:7], s[6:7]
	s_nop 0
	buffer_load_dwordx4 v[26:29], v0, s[16:19], 0 offen
                                        ; implicit-def: $vgpr0
	s_xor_b64 exec, exec, s[6:7]
	s_cbranch_execnz .LBB1_77
; %bb.78:                               ;   in Loop: Header=BB1_44 Depth=1
	s_mov_b64 exec, s[10:11]
	v_accvgpr_read_b32 v0, a239
	;; [unrolled: 20-line block ×4, first 2 shown]
	v_add_u32_e32 v0, v53, v0
	s_mov_b64 s[10:11], exec
.LBB1_83:                               ;   Parent Loop BB1_44 Depth=1
                                        ; =>  This Inner Loop Header: Depth=2
	v_readfirstlane_b32 s16, v8
	v_readfirstlane_b32 s17, v9
	;; [unrolled: 1-line block ×4, first 2 shown]
	v_cmp_eq_u64_e64 s[6:7], s[16:17], v[8:9]
	v_cmp_eq_u64_e64 s[8:9], s[18:19], v[238:239]
	s_and_b64 s[6:7], s[6:7], s[8:9]
	s_and_saveexec_b64 s[6:7], s[6:7]
	s_nop 0
	buffer_load_dwordx4 v[164:167], v0, s[16:19], 0 offen
                                        ; implicit-def: $vgpr0
	s_xor_b64 exec, exec, s[6:7]
	s_cbranch_execnz .LBB1_83
; %bb.84:                               ;   in Loop: Header=BB1_44 Depth=1
	s_mov_b64 exec, s[10:11]
	s_waitcnt lgkmcnt(0)
	s_barrier
	ds_read_b128 v[18:21], v12
	; sched_group_barrier mask(0x00000100) size(2) SyncID(0)
	s_waitcnt lgkmcnt(0)
	v_mfma_f32_32x32x8bf16_1k a[48:63], v[18:19], a[176:177], a[48:63]
	v_mfma_f32_32x32x8bf16_1k a[48:63], v[20:21], a[178:179], a[48:63]
	ds_read_b128 v[18:21], v12 offset:512
	; sched_group_barrier mask(0x00000008) size(2) SyncID(0)
	; sched_group_barrier mask(0x00000100) size(1) SyncID(0)
	s_waitcnt lgkmcnt(0)
	v_mfma_f32_32x32x8bf16_1k a[32:47], v[18:19], a[176:177], a[32:47]
	v_mfma_f32_32x32x8bf16_1k a[32:47], v[20:21], a[178:179], a[32:47]
	ds_read_b128 v[18:21], v12 offset:1024
	; sched_group_barrier mask(0x00000008) size(2) SyncID(0)
	;; [unrolled: 6-line block ×3, first 2 shown]
	; sched_group_barrier mask(0x00000100) size(2) SyncID(0)
	s_waitcnt lgkmcnt(0)
	v_mfma_f32_32x32x8bf16_1k a[0:15], v[18:19], a[176:177], a[0:15]
	v_mfma_f32_32x32x8bf16_1k a[0:15], v[20:21], a[178:179], a[0:15]
	ds_read_b128 v[18:21], v13
	; sched_group_barrier mask(0x00000008) size(2) SyncID(0)
	; sched_group_barrier mask(0x00000100) size(1) SyncID(0)
	s_waitcnt lgkmcnt(0)
	v_mfma_f32_32x32x8bf16_1k a[48:63], v[18:19], a[180:181], a[48:63]
	v_mfma_f32_32x32x8bf16_1k a[48:63], v[20:21], a[182:183], a[48:63]
	ds_read_b128 v[18:21], v13 offset:512
	; sched_group_barrier mask(0x00000008) size(2) SyncID(0)
	; sched_group_barrier mask(0x00000100) size(1) SyncID(0)
	s_waitcnt lgkmcnt(0)
	v_mfma_f32_32x32x8bf16_1k a[32:47], v[18:19], a[180:181], a[32:47]
	v_mfma_f32_32x32x8bf16_1k a[32:47], v[20:21], a[182:183], a[32:47]
	ds_read_b128 v[18:21], v13 offset:1024
	; sched_group_barrier mask(0x00000008) size(4) SyncID(0)
	s_waitcnt lgkmcnt(0)
	v_mfma_f32_32x32x8bf16_1k a[16:31], v[18:19], a[180:181], a[16:31]
	v_mfma_f32_32x32x8bf16_1k a[16:31], v[20:21], a[182:183], a[16:31]
	ds_read_b128 v[18:21], v13 offset:1536
	s_waitcnt lgkmcnt(0)
	s_barrier
	s_waitcnt vmcnt(5)
	ds_write_b128 v2, v[176:179]
	s_waitcnt vmcnt(4)
	ds_write_b128 v2, v[180:183] offset:1024
	s_waitcnt lgkmcnt(0)
	s_barrier
	ds_read_b128 v[178:181], v13 offset:1536
	v_mfma_f32_32x32x8bf16_1k a[0:15], v[18:19], a[180:181], a[0:15]
	v_mfma_f32_32x32x8bf16_1k a[0:15], v[20:21], a[182:183], a[0:15]
	ds_read_b128 v[0:3], v12
	s_waitcnt lgkmcnt(0)
	v_mfma_f32_32x32x8bf16_1k a[48:63], v[0:1], a[184:185], a[48:63]
	v_mfma_f32_32x32x8bf16_1k a[48:63], v[2:3], a[186:187], a[48:63]
	ds_read_b128 v[0:3], v12 offset:512
	s_waitcnt lgkmcnt(0)
	v_mfma_f32_32x32x8bf16_1k a[32:47], v[0:1], a[184:185], a[32:47]
	v_mfma_f32_32x32x8bf16_1k a[32:47], v[2:3], a[186:187], a[32:47]
	ds_read_b128 v[0:3], v12 offset:1024
	;; [unrolled: 4-line block ×3, first 2 shown]
	s_waitcnt lgkmcnt(0)
	v_mfma_f32_32x32x8bf16_1k a[0:15], v[0:1], a[184:185], a[0:15]
	v_mfma_f32_32x32x8bf16_1k a[0:15], v[2:3], a[186:187], a[0:15]
	ds_read_b128 v[0:3], v13
	s_waitcnt lgkmcnt(0)
	v_mfma_f32_32x32x8bf16_1k a[48:63], v[0:1], v[160:161], a[48:63]
	v_mfma_f32_32x32x8bf16_1k a[48:63], v[2:3], v[162:163], a[48:63]
	ds_read_b128 v[0:3], v13 offset:512
	; sched_group_barrier mask(0x00000100) size(2) SyncID(0)
	; sched_group_barrier mask(0x00000008) size(2) SyncID(0)
	;; [unrolled: 1-line block ×5, first 2 shown]
	s_waitcnt lgkmcnt(0)
	v_mfma_f32_32x32x8bf16_1k a[32:47], v[0:1], v[160:161], a[32:47]
	s_nop 7
	s_nop 7
	v_accvgpr_read_b32 v133, a61
	v_mul_f32_e32 v133, v49, v133
	v_mul_f32_e32 v133, 0x4038aa3b, v133
	v_exp_f32_e32 v133, v133
	v_accvgpr_read_b32 v83, a53
	v_accvgpr_read_b32 v102, a56
	v_mul_f32_e32 v83, v49, v83
	v_add_f32_e32 v133, 1.0, v133
	v_rcp_f32_e32 v133, v133
	v_mul_f32_e32 v102, v49, v102
	v_mul_f32_e32 v83, 0x4038aa3b, v83
	v_mfma_f32_32x32x8bf16_1k a[32:47], v[2:3], v[162:163], a[32:47]
	ds_read_b128 v[0:3], v13 offset:1024
	v_fma_f32 v133, v133, -2.0, 1.0
	v_mul_f32_e32 v102, 0x4038aa3b, v102
	v_exp_f32_e32 v83, v83
	v_exp_f32_e32 v102, v102
	v_accvgpr_read_b32 v10, a48
	v_accvgpr_read_b32 v19, a49
	v_add_f32_e32 v83, 1.0, v83
	v_add_f32_e32 v102, 1.0, v102
	v_rcp_f32_e32 v83, v83
	v_rcp_f32_e32 v102, v102
	v_accvgpr_read_b32 v65, a50
	v_accvgpr_read_b32 v69, a51
	v_fma_f32 v83, v83, -2.0, 1.0
	v_fma_f32 v102, v102, -2.0, 1.0
	s_waitcnt lgkmcnt(0)
	v_mfma_f32_32x32x8bf16_1k a[16:31], v[0:1], v[160:161], a[16:31]
	v_accvgpr_read_b32 v80, a52
	v_accvgpr_read_b32 v86, a54
	;; [unrolled: 1-line block ×5, first 2 shown]
	v_mul_f32_e32 v119, v49, v119
	v_mul_f32_e32 v114, v49, v114
	;; [unrolled: 1-line block ×4, first 2 shown]
	v_exp_f32_e32 v119, v119
	v_exp_f32_e32 v114, v114
	v_accvgpr_read_b32 v99, a47
	v_mul_f32_e32 v99, v49, v99
	v_add_f32_e32 v119, 1.0, v119
	v_add_f32_e32 v114, 1.0, v114
	v_mfma_f32_32x32x8bf16_1k a[0:15], v[178:179], v[160:161], a[0:15]
	v_rcp_f32_e32 v119, v119
	v_rcp_f32_e32 v114, v114
	v_mul_f32_e32 v99, 0x4038aa3b, v99
	v_exp_f32_e32 v99, v99
	v_accvgpr_read_b32 v113, a57
	v_accvgpr_read_b32 v117, a58
	;; [unrolled: 1-line block ×3, first 2 shown]
	v_add_f32_e32 v99, 1.0, v99
	v_rcp_f32_e32 v99, v99
	v_accvgpr_read_b32 v131, a60
	v_accvgpr_read_b32 v144, a62
	;; [unrolled: 1-line block ×3, first 2 shown]
	v_fma_f32 v183, v99, -2.0, 1.0
	v_accvgpr_read_b32 v147, a32
	v_accvgpr_read_b32 v150, a33
	v_mfma_f32_32x32x8bf16_1k a[16:31], v[2:3], v[162:163], a[16:31]
	v_accvgpr_read_b32 v151, a34
	v_accvgpr_read_b32 v177, a35
	;; [unrolled: 1-line block ×11, first 2 shown]
	v_mul_f32_e32 v10, v49, v10
	v_mul_f32_e32 v19, v49, v19
	;; [unrolled: 1-line block ×4, first 2 shown]
	v_mfma_f32_32x32x8bf16_1k a[0:15], v[180:181], v[162:163], a[0:15]
	v_fma_f32 v180, v119, -2.0, 1.0
	v_fma_f32 v181, v114, -2.0, 1.0
	v_mul_f32_e32 v80, v49, v80
	v_accvgpr_read_b32 v0, a31
	v_mul_f32_e32 v0, v49, v0
	v_mul_f32_e32 v0, 0x4038aa3b, v0
	v_exp_f32_e32 v0, v0
	v_accvgpr_read_b32 v6, a29
	v_mul_f32_e32 v6, v49, v6
	v_mul_f32_e32 v6, 0x4038aa3b, v6
	v_add_f32_e32 v0, 1.0, v0
	v_rcp_f32_e32 v0, v0
	v_exp_f32_e32 v6, v6
	v_accvgpr_read_b32 v85, a21
	v_mul_f32_e32 v85, v49, v85
	v_fma_f32 v199, v0, -2.0, 1.0
	v_add_f32_e32 v6, 1.0, v6
	v_rcp_f32_e32 v6, v6
	v_mul_f32_e32 v85, 0x4038aa3b, v85
	v_accvgpr_read_b32 v118, a0
	v_mul_f32_e32 v0, v49, v118
	v_mul_f32_e32 v0, 0x4038aa3b, v0
	v_exp_f32_e32 v0, v0
	v_accvgpr_read_b32 v116, a1
	v_accvgpr_read_b32 v103, a2
	;; [unrolled: 1-line block ×3, first 2 shown]
	v_add_f32_e32 v0, 1.0, v0
	v_rcp_f32_e32 v0, v0
	v_accvgpr_read_b32 v96, a4
	v_accvgpr_read_b32 v84, a5
	;; [unrolled: 1-line block ×3, first 2 shown]
	v_fma_f32 v208, v0, -2.0, 1.0
	v_mul_f32_e32 v0, v49, v116
	v_mul_f32_e32 v0, 0x4038aa3b, v0
	v_exp_f32_e32 v0, v0
	v_accvgpr_read_b32 v71, a7
	v_accvgpr_read_b32 v67, a8
	;; [unrolled: 1-line block ×3, first 2 shown]
	v_add_f32_e32 v0, 1.0, v0
	v_rcp_f32_e32 v0, v0
	v_accvgpr_read_b32 v25, a10
	v_accvgpr_read_b32 v20, a11
	;; [unrolled: 1-line block ×3, first 2 shown]
	v_fma_f32 v209, v0, -2.0, 1.0
	v_mul_f32_e32 v0, v49, v103
	v_mul_f32_e32 v0, 0x4038aa3b, v0
	v_exp_f32_e32 v0, v0
	v_accvgpr_read_b32 v7, a13
	v_accvgpr_read_b32 v2, a14
	v_fma_f32 v6, v6, -2.0, 1.0
	v_add_f32_e32 v0, 1.0, v0
	v_rcp_f32_e32 v0, v0
	v_exp_f32_e32 v85, v85
	v_mul_f32_e32 v103, v51, v181
	v_accvgpr_read_b32 v128, a16
	v_fma_f32 v210, v0, -2.0, 1.0
	v_mul_f32_e32 v0, v49, v98
	v_mul_f32_e32 v0, 0x4038aa3b, v0
	v_exp_f32_e32 v0, v0
	v_add_f32_e32 v85, 1.0, v85
	v_rcp_f32_e32 v85, v85
	v_mul_f32_e32 v99, v49, v128
	v_add_f32_e32 v0, 1.0, v0
	v_rcp_f32_e32 v0, v0
	v_fma_f32 v197, v85, -2.0, 1.0
	v_mul_f32_e32 v85, v51, v83
	v_mul_f32_e32 v83, v51, v102
	v_fma_f32 v211, v0, -2.0, 1.0
	v_mul_f32_e32 v0, v49, v96
	v_mul_f32_e32 v0, 0x4038aa3b, v0
	v_exp_f32_e32 v0, v0
	v_mul_f32_e32 v102, v51, v180
	buffer_load_dword v180, off, s[0:3], s32 offset:1532 ; 4-byte Folded Reload
	v_mul_f32_e32 v99, 0x4038aa3b, v99
	v_add_f32_e32 v0, 1.0, v0
	v_rcp_f32_e32 v0, v0
	v_exp_f32_e32 v99, v99
	v_accvgpr_read_b32 v115, a17
	v_accvgpr_read_b32 v112, a18
	v_fma_f32 v212, v0, -2.0, 1.0
	v_mul_f32_e32 v0, v49, v84
	v_mul_f32_e32 v0, 0x4038aa3b, v0
	v_exp_f32_e32 v0, v0
	v_add_f32_e32 v99, 1.0, v99
	v_rcp_f32_e32 v99, v99
	v_accvgpr_read_b32 v100, a19
	v_add_f32_e32 v0, 1.0, v0
	v_rcp_f32_e32 v0, v0
	v_fma_f32 v192, v99, -2.0, 1.0
	v_mul_f32_e32 v99, v49, v115
	v_mul_f32_e32 v99, 0x4038aa3b, v99
	v_fma_f32 v213, v0, -2.0, 1.0
	v_mul_f32_e32 v0, v49, v81
	v_mul_f32_e32 v0, 0x4038aa3b, v0
	v_exp_f32_e32 v0, v0
	v_exp_f32_e32 v99, v99
	v_accvgpr_read_b32 v87, a20
	v_accvgpr_read_b32 v82, a22
	v_add_f32_e32 v0, 1.0, v0
	v_rcp_f32_e32 v0, v0
	v_add_f32_e32 v99, 1.0, v99
	v_rcp_f32_e32 v99, v99
	v_accvgpr_read_b32 v70, a23
	v_fma_f32 v214, v0, -2.0, 1.0
	v_mul_f32_e32 v0, v49, v71
	v_mul_f32_e32 v0, 0x4038aa3b, v0
	v_exp_f32_e32 v0, v0
	v_fma_f32 v193, v99, -2.0, 1.0
	v_mul_f32_e32 v99, v49, v112
	v_mul_f32_e32 v99, 0x4038aa3b, v99
	v_add_f32_e32 v0, 1.0, v0
	v_rcp_f32_e32 v0, v0
	v_exp_f32_e32 v99, v99
	v_accvgpr_read_b32 v68, a24
	v_accvgpr_read_b32 v39, a25
	v_fma_f32 v215, v0, -2.0, 1.0
	v_mul_f32_e32 v0, v49, v67
	v_mul_f32_e32 v0, 0x4038aa3b, v0
	v_exp_f32_e32 v0, v0
	v_mul_f32_e32 v67, v51, v133
	v_mul_f32_e32 v133, v51, v6
	v_add_f32_e32 v99, 1.0, v99
	v_add_f32_e32 v0, 1.0, v0
	v_rcp_f32_e32 v0, v0
	v_rcp_f32_e32 v99, v99
	v_accvgpr_read_b32 v24, a26
	v_accvgpr_read_b32 v21, a27
	v_fma_f32 v224, v0, -2.0, 1.0
	v_mul_f32_e32 v0, v49, v38
	v_mul_f32_e32 v0, 0x4038aa3b, v0
	v_exp_f32_e32 v0, v0
	v_accvgpr_read_b32 v18, a28
	v_accvgpr_read_b32 v3, a30
	;; [unrolled: 1-line block ×3, first 2 shown]
	v_add_f32_e32 v0, 1.0, v0
	v_rcp_f32_e32 v0, v0
	v_mul_f32_e32 v86, v49, v86
	v_mul_f32_e32 v97, v49, v97
	v_mul_f32_e32 v113, v49, v113
	v_fma_f32 v225, v0, -2.0, 1.0
	v_mul_f32_e32 v0, v49, v25
	v_mul_f32_e32 v0, 0x4038aa3b, v0
	v_exp_f32_e32 v0, v0
	v_mul_f32_e32 v117, v49, v117
	v_mul_f32_e32 v130, v49, v130
	v_mul_f32_e32 v131, v49, v131
	v_add_f32_e32 v0, 1.0, v0
	v_rcp_f32_e32 v0, v0
	v_mul_f32_e32 v144, v49, v144
	v_mul_f32_e32 v145, v49, v145
	v_mul_f32_e32 v147, v49, v147
	v_fma_f32 v226, v0, -2.0, 1.0
	v_mul_f32_e32 v0, v49, v20
	v_mul_f32_e32 v0, 0x4038aa3b, v0
	v_exp_f32_e32 v0, v0
	v_mul_f32_e32 v150, v49, v150
	v_mul_f32_e32 v151, v49, v151
	v_mul_f32_e32 v177, v49, v177
	;; [unrolled: 12-line block ×3, first 2 shown]
	v_add_f32_e32 v0, 1.0, v0
	v_rcp_f32_e32 v0, v0
	v_mul_f32_e32 v132, v49, v132
	v_mul_f32_e32 v129, v49, v129
	;; [unrolled: 1-line block ×3, first 2 shown]
	v_fma_f32 v228, v0, -2.0, 1.0
	v_mul_f32_e32 v0, v49, v7
	v_mul_f32_e32 v0, 0x4038aa3b, v0
	v_exp_f32_e32 v0, v0
	v_fma_f32 v194, v99, -2.0, 1.0
	v_mul_f32_e32 v99, v49, v100
	v_mul_f32_e32 v87, v49, v87
	v_add_f32_e32 v0, 1.0, v0
	v_rcp_f32_e32 v0, v0
	v_mul_f32_e32 v82, v49, v82
	v_mul_f32_e32 v70, v49, v70
	;; [unrolled: 1-line block ×3, first 2 shown]
	v_fma_f32 v7, v0, -2.0, 1.0
	v_mul_f32_e32 v0, v49, v2
	v_mul_f32_e32 v0, 0x4038aa3b, v0
	v_exp_f32_e32 v0, v0
	v_mul_f32_e32 v39, v49, v39
	v_mul_f32_e32 v24, v49, v24
	;; [unrolled: 1-line block ×3, first 2 shown]
	v_add_f32_e32 v0, 1.0, v0
	v_rcp_f32_e32 v0, v0
	v_mul_f32_e32 v18, v49, v18
	v_mul_f32_e32 v3, v49, v3
	;; [unrolled: 1-line block ×3, first 2 shown]
	v_fma_f32 v2, v0, -2.0, 1.0
	v_mul_f32_e32 v6, v51, v2
	buffer_load_dword v2, off, s[0:3], s32 offset:1560 ; 4-byte Folded Reload
	v_mul_f32_e32 v0, v49, v1
	v_mul_f32_e32 v19, 0x4038aa3b, v19
	;; [unrolled: 1-line block ×37, first 2 shown]
	v_exp_f32_e32 v10, v10
	v_exp_f32_e32 v19, v19
	;; [unrolled: 1-line block ×37, first 2 shown]
	v_add_f32_e32 v10, 1.0, v10
	v_add_f32_e32 v19, 1.0, v19
	v_add_f32_e32 v65, 1.0, v65
	v_add_f32_e32 v69, 1.0, v69
	v_add_f32_e32 v80, 1.0, v80
	s_waitcnt vmcnt(0)
	v_cmp_gt_i32_e64 s[6:7], v52, v2
	buffer_load_dword v2, off, s[0:3], s32 offset:1540 ; 4-byte Folded Reload
	v_add_f32_e32 v86, 1.0, v86
	v_add_f32_e32 v97, 1.0, v97
	v_add_f32_e32 v113, 1.0, v113
	v_add_f32_e32 v117, 1.0, v117
	v_add_f32_e32 v130, 1.0, v130
	v_add_f32_e32 v131, 1.0, v131
	v_add_f32_e32 v144, 1.0, v144
	v_add_f32_e32 v145, 1.0, v145
	v_add_f32_e32 v147, 1.0, v147
	v_add_f32_e32 v150, 1.0, v150
	v_add_f32_e32 v151, 1.0, v151
	v_add_f32_e32 v177, 1.0, v177
	v_add_f32_e32 v176, 1.0, v176
	v_add_f32_e32 v149, 1.0, v149
	v_add_f32_e32 v148, 1.0, v148
	v_add_f32_e32 v146, 1.0, v146
	v_add_f32_e32 v135, 1.0, v135
	v_add_f32_e32 v134, 1.0, v134
	v_add_f32_e32 v132, 1.0, v132
	v_add_f32_e32 v129, 1.0, v129
	v_add_f32_e32 v101, 1.0, v101
	v_add_f32_e32 v99, 1.0, v99
	v_add_f32_e32 v87, 1.0, v87
	v_add_f32_e32 v82, 1.0, v82
	v_add_f32_e32 v70, 1.0, v70
	v_add_f32_e32 v68, 1.0, v68
	v_add_f32_e32 v39, 1.0, v39
	v_add_f32_e32 v24, 1.0, v24
	v_add_f32_e32 v21, 1.0, v21
	v_add_f32_e32 v18, 1.0, v18
	v_add_f32_e32 v3, 1.0, v3
	v_add_f32_e32 v0, 1.0, v0
	v_rcp_f32_e32 v10, v10
	v_rcp_f32_e32 v19, v19
	;; [unrolled: 1-line block ×37, first 2 shown]
	buffer_load_dword v181, off, s[0:3], s32 offset:1536 ; 4-byte Folded Reload
	v_fma_f32 v10, v10, -2.0, 1.0
	v_fma_f32 v19, v19, -2.0, 1.0
	;; [unrolled: 1-line block ×9, first 2 shown]
	s_waitcnt vmcnt(1)
	v_add3_u32 v2, v2, v52, s27
	v_min_i32_e32 v2, v2, v180
	v_fma_f32 v130, v130, -2.0, 1.0
	v_fma_f32 v131, v131, -2.0, 1.0
	;; [unrolled: 1-line block ×28, first 2 shown]
	v_cmp_gt_i32_e64 s[8:9], s29, v2
	v_mul_f32_e32 v98, v51, v10
	v_mul_f32_e32 v96, v51, v19
	;; [unrolled: 1-line block ×57, first 2 shown]
	s_or_b64 s[6:7], s[6:7], s[8:9]
	; sched_group_barrier mask(0x00000008) size(4) SyncID(0)
	; sched_group_barrier mask(0x00000100) size(2) SyncID(0)
	;; [unrolled: 1-line block ×7, first 2 shown]
	s_and_saveexec_b64 s[16:17], s[6:7]
	s_cbranch_execz .LBB1_86
; %bb.85:                               ;   in Loop: Header=BB1_44 Depth=1
	v_accvgpr_read_b32 v2, a241
	v_readfirstlane_b32 s6, v2
	buffer_load_dword v2, off, s[0:3], s32 offset:1452 ; 4-byte Folded Reload
	buffer_load_dword v182, off, s[0:3], s32 offset:1628 ; 4-byte Folded Reload
	;; [unrolled: 1-line block ×6, first 2 shown]
	s_waitcnt vmcnt(5)
	v_lshl_add_u32 v2, s6, 5, v2
	s_waitcnt vmcnt(4)
	v_add_u32_e32 v182, v182, v2
	s_waitcnt vmcnt(3)
	v_add_u32_e32 v86, v86, v52
	v_add_u32_e32 v180, 0xffffff80, v86
	s_waitcnt vmcnt(1)
	v_min_i32_e32 v182, v182, v192
	buffer_load_dword v192, off, s[0:3], s32 offset:1532 ; 4-byte Folded Reload
	buffer_load_dword v193, off, s[0:3], s32 offset:1536 ; 4-byte Folded Reload
	v_sub_u32_e32 v181, v2, v181
	v_cmp_gt_i32_e64 s[10:11], v182, v180
	v_cmp_lt_i32_e64 s[8:9], v181, v180
	s_waitcnt vmcnt(1)
	v_cmp_gt_i32_e64 s[6:7], v192, v2
	s_and_b64 s[10:11], s[10:11], s[6:7]
	v_add_u32_e32 v2, 0xffffff81, v86
	s_and_b64 s[8:9], s[10:11], s[8:9]
	v_cmp_gt_i32_e64 s[10:11], v182, v2
	v_cndmask_b32_e64 v98, v50, v98, s[8:9]
	v_cmp_lt_i32_e64 s[8:9], v181, v2
	s_and_b64 s[10:11], s[10:11], s[6:7]
	v_add_u32_e32 v2, 0xffffff82, v86
	s_and_b64 s[8:9], s[10:11], s[8:9]
	v_cmp_gt_i32_e64 s[10:11], v182, v2
	v_cndmask_b32_e64 v96, v50, v96, s[8:9]
	v_cmp_lt_i32_e64 s[8:9], v181, v2
	;; [unrolled: 6-line block ×5, first 2 shown]
	s_and_b64 s[10:11], s[10:11], s[6:7]
	s_and_b64 s[8:9], s[10:11], s[8:9]
	v_add_u32_e32 v2, 0xffffff86, v86
	v_cndmask_b32_e64 v85, v50, v85, s[8:9]
	v_cmp_lt_i32_e64 s[8:9], v181, v2
	v_cmp_gt_i32_e64 s[10:11], v182, v2
	buffer_load_dword v2, off, s[0:3], s32 offset:1632 ; 4-byte Folded Reload
	s_and_b64 s[10:11], s[10:11], s[6:7]
	s_and_b64 s[8:9], s[10:11], s[8:9]
	v_cndmask_b32_e64 v1, v50, v1, s[8:9]
	s_waitcnt vmcnt(0)
	v_add3_u32 v2, v2, v52, s27
	v_cmp_gt_i32_e64 s[10:11], v182, v2
	v_cmp_lt_i32_e64 s[8:9], v181, v2
	s_and_b64 s[10:11], s[10:11], s[6:7]
	v_add_u32_e32 v2, 0xffffff90, v86
	s_and_b64 s[8:9], s[10:11], s[8:9]
	v_cmp_gt_i32_e64 s[10:11], v182, v2
	v_cndmask_b32_e64 v84, v50, v84, s[8:9]
	v_cmp_lt_i32_e64 s[8:9], v181, v2
	s_and_b64 s[10:11], s[10:11], s[6:7]
	v_add_u32_e32 v2, 0xffffff91, v86
	s_and_b64 s[8:9], s[10:11], s[8:9]
	v_cmp_gt_i32_e64 s[10:11], v182, v2
	v_cndmask_b32_e64 v83, v50, v83, s[8:9]
	;; [unrolled: 6-line block ×24, first 2 shown]
	v_cmp_lt_i32_e64 s[8:9], v181, v2
	s_and_b64 s[10:11], s[10:11], s[6:7]
	v_subrev_u32_e32 v2, 64, v86
	s_and_b64 s[8:9], s[10:11], s[8:9]
	v_cmp_gt_i32_e64 s[10:11], v182, v2
	v_cndmask_b32_e64 v113, v50, v113, s[8:9]
	v_cmp_lt_i32_e64 s[8:9], v181, v2
	s_and_b64 s[10:11], s[10:11], s[6:7]
	v_subrev_u32_e32 v2, 63, v86
	s_and_b64 s[8:9], s[10:11], s[8:9]
	v_cmp_gt_i32_e64 s[10:11], v182, v2
	v_cndmask_b32_e64 v178, v50, v178, s[8:9]
	v_cmp_lt_i32_e64 s[8:9], v181, v2
	s_and_b64 s[10:11], s[10:11], s[6:7]
	v_subrev_u32_e32 v2, 62, v86
	s_and_b64 s[8:9], s[10:11], s[8:9]
	v_cmp_gt_i32_e64 s[10:11], v182, v2
	v_cndmask_b32_e64 v177, v50, v177, s[8:9]
	v_cmp_lt_i32_e64 s[8:9], v181, v2
	s_and_b64 s[10:11], s[10:11], s[6:7]
	v_subrev_u32_e32 v2, 61, v86
	s_and_b64 s[8:9], s[10:11], s[8:9]
	v_cmp_gt_i32_e64 s[10:11], v182, v2
	v_cndmask_b32_e64 v176, v50, v176, s[8:9]
	v_cmp_lt_i32_e64 s[8:9], v181, v2
	s_and_b64 s[10:11], s[10:11], s[6:7]
	v_subrev_u32_e32 v2, 60, v86
	s_and_b64 s[8:9], s[10:11], s[8:9]
	v_cmp_gt_i32_e64 s[10:11], v182, v2
	v_cndmask_b32_e64 v151, v50, v151, s[8:9]
	v_cmp_lt_i32_e64 s[8:9], v181, v2
	s_and_b64 s[10:11], s[10:11], s[6:7]
	v_subrev_u32_e32 v2, 59, v86
	s_and_b64 s[8:9], s[10:11], s[8:9]
	v_cmp_gt_i32_e64 s[10:11], v182, v2
	v_cndmask_b32_e64 v150, v50, v150, s[8:9]
	v_cmp_lt_i32_e64 s[8:9], v181, v2
	s_and_b64 s[10:11], s[10:11], s[6:7]
	v_subrev_u32_e32 v2, 58, v86
	s_and_b64 s[8:9], s[10:11], s[8:9]
	v_cmp_gt_i32_e64 s[10:11], v182, v2
	v_cndmask_b32_e64 v149, v50, v149, s[8:9]
	v_cmp_lt_i32_e64 s[8:9], v181, v2
	s_and_b64 s[10:11], s[10:11], s[6:7]
	v_subrev_u32_e32 v2, 57, v86
	s_and_b64 s[8:9], s[10:11], s[8:9]
	v_cmp_gt_i32_e64 s[10:11], v182, v2
	v_cndmask_b32_e64 v148, v50, v148, s[8:9]
	v_cmp_lt_i32_e64 s[8:9], v181, v2
	s_and_b64 s[10:11], s[10:11], s[6:7]
	v_subrev_u32_e32 v2, 48, v86
	s_and_b64 s[8:9], s[10:11], s[8:9]
	v_cmp_gt_i32_e64 s[10:11], v182, v2
	v_cndmask_b32_e64 v147, v50, v147, s[8:9]
	v_cmp_lt_i32_e64 s[8:9], v181, v2
	s_and_b64 s[10:11], s[10:11], s[6:7]
	v_subrev_u32_e32 v2, 47, v86
	s_and_b64 s[8:9], s[10:11], s[8:9]
	v_cmp_gt_i32_e64 s[10:11], v182, v2
	v_cndmask_b32_e64 v146, v50, v146, s[8:9]
	v_cmp_lt_i32_e64 s[8:9], v181, v2
	s_and_b64 s[10:11], s[10:11], s[6:7]
	v_subrev_u32_e32 v2, 46, v86
	s_and_b64 s[8:9], s[10:11], s[8:9]
	v_cmp_gt_i32_e64 s[10:11], v182, v2
	v_cndmask_b32_e64 v145, v50, v145, s[8:9]
	v_cmp_lt_i32_e64 s[8:9], v181, v2
	s_and_b64 s[10:11], s[10:11], s[6:7]
	v_subrev_u32_e32 v2, 45, v86
	s_and_b64 s[8:9], s[10:11], s[8:9]
	v_cmp_gt_i32_e64 s[10:11], v182, v2
	v_cndmask_b32_e64 v144, v50, v144, s[8:9]
	v_cmp_lt_i32_e64 s[8:9], v181, v2
	s_and_b64 s[10:11], s[10:11], s[6:7]
	v_subrev_u32_e32 v2, 44, v86
	s_and_b64 s[8:9], s[10:11], s[8:9]
	v_cmp_gt_i32_e64 s[10:11], v182, v2
	v_cndmask_b32_e64 v135, v50, v135, s[8:9]
	v_cmp_lt_i32_e64 s[8:9], v181, v2
	s_and_b64 s[10:11], s[10:11], s[6:7]
	v_subrev_u32_e32 v2, 43, v86
	s_and_b64 s[8:9], s[10:11], s[8:9]
	v_cmp_gt_i32_e64 s[10:11], v182, v2
	v_cndmask_b32_e64 v134, v50, v134, s[8:9]
	v_cmp_lt_i32_e64 s[8:9], v181, v2
	s_and_b64 s[10:11], s[10:11], s[6:7]
	v_subrev_u32_e32 v2, 42, v86
	s_and_b64 s[8:9], s[10:11], s[8:9]
	v_cmp_gt_i32_e64 s[10:11], v182, v2
	v_cndmask_b32_e64 v133, v50, v133, s[8:9]
	v_cmp_lt_i32_e64 s[8:9], v181, v2
	s_and_b64 s[10:11], s[10:11], s[6:7]
	v_subrev_u32_e32 v2, 41, v86
	s_and_b64 s[8:9], s[10:11], s[8:9]
	v_cmp_gt_i32_e64 s[10:11], v182, v2
	v_cndmask_b32_e64 v132, v50, v132, s[8:9]
	v_cmp_lt_i32_e64 s[8:9], v181, v2
	s_and_b64 s[10:11], s[10:11], s[6:7]
	v_subrev_u32_e32 v2, 32, v86
	s_and_b64 s[8:9], s[10:11], s[8:9]
	v_cmp_gt_i32_e64 s[10:11], v182, v2
	v_cndmask_b32_e64 v131, v50, v131, s[8:9]
	v_cmp_lt_i32_e64 s[8:9], v181, v2
	s_and_b64 s[10:11], s[10:11], s[6:7]
	v_subrev_u32_e32 v2, 31, v86
	s_and_b64 s[8:9], s[10:11], s[8:9]
	v_cmp_gt_i32_e64 s[10:11], v182, v2
	v_cndmask_b32_e64 v130, v50, v130, s[8:9]
	v_cmp_lt_i32_e64 s[8:9], v181, v2
	s_and_b64 s[10:11], s[10:11], s[6:7]
	v_subrev_u32_e32 v2, 30, v86
	s_and_b64 s[8:9], s[10:11], s[8:9]
	v_cmp_gt_i32_e64 s[10:11], v182, v2
	v_cndmask_b32_e64 v70, v50, v70, s[8:9]
	v_cmp_lt_i32_e64 s[8:9], v181, v2
	s_and_b64 s[10:11], s[10:11], s[6:7]
	v_subrev_u32_e32 v2, 29, v86
	s_and_b64 s[8:9], s[10:11], s[8:9]
	v_cmp_gt_i32_e64 s[10:11], v182, v2
	v_cndmask_b32_e64 v69, v50, v69, s[8:9]
	v_cmp_lt_i32_e64 s[8:9], v181, v2
	s_and_b64 s[10:11], s[10:11], s[6:7]
	v_subrev_u32_e32 v2, 28, v86
	s_and_b64 s[8:9], s[10:11], s[8:9]
	v_cmp_gt_i32_e64 s[10:11], v182, v2
	v_cndmask_b32_e64 v68, v50, v68, s[8:9]
	v_cmp_lt_i32_e64 s[8:9], v181, v2
	s_and_b64 s[10:11], s[10:11], s[6:7]
	v_subrev_u32_e32 v2, 27, v86
	s_and_b64 s[8:9], s[10:11], s[8:9]
	v_cmp_gt_i32_e64 s[10:11], v182, v2
	v_cndmask_b32_e64 v39, v50, v39, s[8:9]
	v_cmp_lt_i32_e64 s[8:9], v181, v2
	s_and_b64 s[10:11], s[10:11], s[6:7]
	v_subrev_u32_e32 v2, 26, v86
	s_and_b64 s[8:9], s[10:11], s[8:9]
	v_cmp_gt_i32_e64 s[10:11], v182, v2
	v_cndmask_b32_e64 v38, v50, v38, s[8:9]
	v_cmp_lt_i32_e64 s[8:9], v181, v2
	s_and_b64 s[10:11], s[10:11], s[6:7]
	v_subrev_u32_e32 v2, 25, v86
	s_and_b64 s[8:9], s[10:11], s[8:9]
	v_cmp_gt_i32_e64 s[10:11], v182, v2
	v_cndmask_b32_e64 v25, v50, v25, s[8:9]
	v_cmp_lt_i32_e64 s[8:9], v181, v2
	s_and_b64 s[10:11], s[10:11], s[6:7]
	v_add_u32_e32 v2, -16, v86
	s_and_b64 s[8:9], s[10:11], s[8:9]
	v_cmp_gt_i32_e64 s[10:11], v182, v2
	v_cndmask_b32_e64 v24, v50, v24, s[8:9]
	v_cmp_lt_i32_e64 s[8:9], v181, v2
	s_and_b64 s[10:11], s[10:11], s[6:7]
	v_add_u32_e32 v2, -15, v86
	s_and_b64 s[8:9], s[10:11], s[8:9]
	v_cmp_gt_i32_e64 s[10:11], v182, v2
	v_cndmask_b32_e64 v21, v50, v21, s[8:9]
	;; [unrolled: 6-line block ×8, first 2 shown]
	v_cmp_lt_i32_e64 s[8:9], v181, v2
	s_and_b64 s[6:7], s[10:11], s[6:7]
	s_and_b64 s[6:7], s[6:7], s[8:9]
	v_cndmask_b32_e64 v3, v50, v3, s[6:7]
.LBB1_86:                               ;   in Loop: Header=BB1_44 Depth=1
	s_or_b64 exec, exec, s[16:17]
	buffer_load_dword v181, off, s[0:3], s32 offset:1564 ; 4-byte Folded Reload
	v_max3_f32 v2, v98, s28, v96
	v_max3_f32 v2, v2, v0, v87
	;; [unrolled: 1-line block ×32, first 2 shown]
	s_waitcnt lgkmcnt(0)
	s_barrier
	v_accvgpr_read_b32 v244, a241
	s_waitcnt vmcnt(0)
	ds_bpermute_b32 v86, v181, v2
	s_waitcnt lgkmcnt(0)
	v_max3_f32 v2, v66, v2, v86
	v_cmp_neq_f32_e64 s[6:7], s28, v2
	v_accvgpr_write_b32 a204, v2
	v_cndmask_b32_e64 v2, 0, v2, s[6:7]
	v_sub_f32_e32 v86, v98, v2
	v_sub_f32_e32 v96, v96, v2
	;; [unrolled: 1-line block ×3, first 2 shown]
	v_exp_f32_e32 v0, v86
	v_exp_f32_e32 v98, v96
	;; [unrolled: 1-line block ×3, first 2 shown]
	v_sub_f32_e32 v86, v87, v2
	v_exp_f32_e32 v87, v86
	v_sub_f32_e32 v86, v179, v2
	v_exp_f32_e32 v86, v86
	v_sub_f32_e32 v85, v85, v2
	v_sub_f32_e32 v3, v3, v2
	v_exp_f32_e32 v85, v85
	v_sub_f32_e32 v1, v1, v2
	v_exp_f32_e32 v229, v3
	v_add_f32_e32 v3, v0, v98
	v_exp_f32_e32 v1, v1
	v_sub_f32_e32 v84, v84, v2
	v_add_f32_e32 v3, v96, v3
	v_exp_f32_e32 v84, v84
	v_sub_f32_e32 v83, v83, v2
	v_add_f32_e32 v3, v87, v3
	v_exp_f32_e32 v83, v83
	v_sub_f32_e32 v82, v82, v2
	v_add_f32_e32 v3, v86, v3
	v_exp_f32_e32 v82, v82
	v_sub_f32_e32 v81, v81, v2
	v_add_f32_e32 v3, v85, v3
	v_exp_f32_e32 v81, v81
	v_sub_f32_e32 v80, v80, v2
	v_add_f32_e32 v3, v1, v3
	v_exp_f32_e32 v80, v80
	v_sub_f32_e32 v71, v71, v2
	v_add_f32_e32 v3, v84, v3
	v_exp_f32_e32 v71, v71
	v_sub_f32_e32 v67, v67, v2
	v_add_f32_e32 v3, v83, v3
	v_exp_f32_e32 v67, v67
	v_sub_f32_e32 v65, v65, v2
	v_add_f32_e32 v3, v82, v3
	v_exp_f32_e32 v65, v65
	v_sub_f32_e32 v20, v20, v2
	v_add_f32_e32 v3, v81, v3
	v_exp_f32_e32 v20, v20
	v_sub_f32_e32 v117, v117, v2
	v_add_f32_e32 v3, v80, v3
	v_exp_f32_e32 v117, v117
	v_sub_f32_e32 v119, v119, v2
	v_add_f32_e32 v3, v71, v3
	v_exp_f32_e32 v119, v119
	v_sub_f32_e32 v128, v128, v2
	v_add_f32_e32 v3, v67, v3
	v_exp_f32_e32 v128, v128
	v_sub_f32_e32 v129, v129, v2
	v_add_f32_e32 v3, v65, v3
	v_exp_f32_e32 v129, v129
	v_sub_f32_e32 v114, v114, v2
	v_add_f32_e32 v3, v20, v3
	v_exp_f32_e32 v114, v114
	v_sub_f32_e32 v115, v115, v2
	v_add_f32_e32 v3, v117, v3
	v_exp_f32_e32 v115, v115
	v_sub_f32_e32 v116, v116, v2
	v_add_f32_e32 v3, v119, v3
	v_exp_f32_e32 v116, v116
	v_sub_f32_e32 v118, v118, v2
	v_add_f32_e32 v3, v128, v3
	v_exp_f32_e32 v118, v118
	v_sub_f32_e32 v97, v97, v2
	v_add_f32_e32 v3, v129, v3
	v_exp_f32_e32 v97, v97
	v_sub_f32_e32 v99, v99, v2
	v_add_f32_e32 v3, v114, v3
	v_exp_f32_e32 v99, v99
	v_sub_f32_e32 v100, v100, v2
	v_add_f32_e32 v3, v115, v3
	v_exp_f32_e32 v100, v100
	v_sub_f32_e32 v101, v101, v2
	v_add_f32_e32 v3, v116, v3
	v_exp_f32_e32 v101, v101
	v_sub_f32_e32 v102, v102, v2
	v_add_f32_e32 v3, v118, v3
	v_exp_f32_e32 v102, v102
	v_sub_f32_e32 v103, v103, v2
	v_add_f32_e32 v3, v97, v3
	v_exp_f32_e32 v103, v103
	v_sub_f32_e32 v112, v112, v2
	v_add_f32_e32 v3, v99, v3
	v_exp_f32_e32 v112, v112
	v_sub_f32_e32 v113, v113, v2
	v_add_f32_e32 v3, v100, v3
	v_exp_f32_e32 v113, v113
	v_sub_f32_e32 v178, v178, v2
	v_add_f32_e32 v3, v101, v3
	v_exp_f32_e32 v242, v178
	v_sub_f32_e32 v177, v177, v2
	v_add_f32_e32 v3, v102, v3
	v_exp_f32_e32 v241, v177
	v_sub_f32_e32 v176, v176, v2
	v_add_f32_e32 v3, v103, v3
	v_exp_f32_e32 v240, v176
	v_sub_f32_e32 v151, v151, v2
	v_add_f32_e32 v3, v112, v3
	v_exp_f32_e32 v151, v151
	v_sub_f32_e32 v150, v150, v2
	v_add_f32_e32 v3, v113, v3
	v_exp_f32_e32 v150, v150
	v_sub_f32_e32 v149, v149, v2
	v_add_f32_e32 v3, v242, v3
	v_exp_f32_e32 v149, v149
	v_sub_f32_e32 v148, v148, v2
	v_add_f32_e32 v3, v241, v3
	v_exp_f32_e32 v148, v148
	v_sub_f32_e32 v147, v147, v2
	v_add_f32_e32 v3, v240, v3
	v_exp_f32_e32 v147, v147
	v_sub_f32_e32 v146, v146, v2
	v_add_f32_e32 v3, v151, v3
	v_exp_f32_e32 v146, v146
	v_sub_f32_e32 v145, v145, v2
	v_add_f32_e32 v3, v150, v3
	v_exp_f32_e32 v145, v145
	v_sub_f32_e32 v144, v144, v2
	v_add_f32_e32 v3, v149, v3
	v_exp_f32_e32 v144, v144
	v_sub_f32_e32 v135, v135, v2
	v_add_f32_e32 v3, v148, v3
	v_exp_f32_e32 v135, v135
	v_sub_f32_e32 v134, v134, v2
	v_add_f32_e32 v3, v147, v3
	v_exp_f32_e32 v134, v134
	v_sub_f32_e32 v133, v133, v2
	v_add_f32_e32 v3, v146, v3
	v_exp_f32_e32 v133, v133
	v_sub_f32_e32 v132, v132, v2
	v_add_f32_e32 v3, v145, v3
	v_exp_f32_e32 v132, v132
	v_sub_f32_e32 v131, v131, v2
	v_add_f32_e32 v3, v144, v3
	v_exp_f32_e32 v131, v131
	v_sub_f32_e32 v130, v130, v2
	v_add_f32_e32 v3, v135, v3
	v_exp_f32_e32 v198, v130
	v_sub_f32_e32 v70, v70, v2
	v_add_f32_e32 v3, v134, v3
	v_exp_f32_e32 v214, v70
	v_sub_f32_e32 v69, v69, v2
	v_add_f32_e32 v3, v133, v3
	v_exp_f32_e32 v199, v69
	v_sub_f32_e32 v68, v68, v2
	v_add_f32_e32 v3, v132, v3
	v_exp_f32_e32 v215, v68
	v_sub_f32_e32 v39, v39, v2
	v_add_f32_e32 v3, v131, v3
	v_exp_f32_e32 v208, v39
	v_sub_f32_e32 v38, v38, v2
	v_add_f32_e32 v3, v198, v3
	v_exp_f32_e32 v224, v38
	v_sub_f32_e32 v25, v25, v2
	v_add_f32_e32 v3, v214, v3
	v_exp_f32_e32 v209, v25
	v_sub_f32_e32 v24, v24, v2
	v_add_f32_e32 v3, v199, v3
	v_exp_f32_e32 v225, v24
	v_sub_f32_e32 v21, v21, v2
	v_add_f32_e32 v3, v215, v3
	v_exp_f32_e32 v210, v21
	v_sub_f32_e32 v19, v19, v2
	v_add_f32_e32 v3, v208, v3
	v_exp_f32_e32 v226, v19
	v_sub_f32_e32 v18, v18, v2
	v_add_f32_e32 v3, v224, v3
	v_exp_f32_e32 v211, v18
	v_sub_f32_e32 v11, v11, v2
	v_add_f32_e32 v3, v209, v3
	v_exp_f32_e32 v227, v11
	v_sub_f32_e32 v10, v10, v2
	v_add_f32_e32 v3, v225, v3
	v_exp_f32_e32 v212, v10
	v_sub_f32_e32 v7, v7, v2
	v_add_f32_e32 v3, v210, v3
	v_exp_f32_e32 v228, v7
	v_sub_f32_e32 v6, v6, v2
	v_add_f32_e32 v3, v226, v3
	v_exp_f32_e32 v213, v6
	v_add_f32_e32 v3, v211, v3
	v_add_f32_e32 v3, v227, v3
	;; [unrolled: 1-line block ×6, first 2 shown]
	buffer_load_dword v3, off, s[0:3], s32 offset:1568 ; 4-byte Folded Reload
	buffer_load_dword v176, off, s[0:3], s32 offset:1612 ; 4-byte Folded Reload
	;; [unrolled: 1-line block ×5, first 2 shown]
	v_readfirstlane_b32 s6, v244
	ds_bpermute_b32 v231, v181, v230
	s_lshl_b32 s8, s6, 8
	s_add_i32 s9, s6, s30
	v_add_u32_e32 v6, 0xffffff80, v52
	v_ashrrev_i32_e32 v10, 5, v6
	s_waitcnt vmcnt(4)
	v_add_u32_e32 v3, s8, v3
	s_waitcnt vmcnt(3)
	v_mad_u64_u32 v[180:181], s[6:7], v176, s46, 0
	buffer_load_dword v176, off, s[0:3], s32 offset:1576 ; 4-byte Folded Reload
	buffer_load_dword v177, off, s[0:3], s32 offset:1580 ; 4-byte Folded Reload
	;; [unrolled: 1-line block ×6, first 2 shown]
	s_mul_hi_u32 s6, s9, 0xcd9e8d57
	s_xor_b32 s6, s13, s6
	v_xor_b32_e32 v7, v10, v181
	s_mul_i32 s9, s9, 0xcd9e8d57
	v_xor_b32_e32 v7, s15, v7
	s_xor_b32 s52, s9, s35
	s_waitcnt vmcnt(4)
	v_xor_b32_e32 v6, s6, v177
	v_mad_u64_u32 v[182:183], s[6:7], v6, s46, 0
	v_mad_u64_u32 v[6:7], s[6:7], v7, s47, 0
	v_xor_b32_e32 v11, s36, v183
	v_xor_b32_e32 v7, s52, v7
	v_xor_b32_e32 v11, v11, v180
	v_mad_u64_u32 v[18:19], s[6:7], v7, s46, 0
	v_mad_u64_u32 v[192:193], s[6:7], v11, s47, 0
	v_xor_b32_e32 v11, s37, v193
	v_xor_b32_e32 v7, s38, v19
	v_xor_b32_e32 v6, v11, v6
	v_xor_b32_e32 v19, v7, v182
	v_mad_u64_u32 v[6:7], s[6:7], v6, s46, 0
	v_mad_u64_u32 v[24:25], s[6:7], v19, s47, 0
	v_xor_b32_e32 v19, s39, v25
	;; [unrolled: 6-line block ×5, first 2 shown]
	v_xor_b32_e32 v6, v19, v6
	s_waitcnt vmcnt(1)
	v_or_b32_e32 v130, s8, v130
	v_xor_b32_e32 v7, s34, v7
	v_xor_b32_e32 v6, s45, v6
	s_waitcnt vmcnt(0)
	v_add_u32_e32 v130, v176, v130
	v_lshrrev_b32_e32 v19, 8, v7
	v_lshrrev_b32_e32 v21, 24, v7
	;; [unrolled: 1-line block ×8, first 2 shown]
	ds_write_b8 v130, v7
	ds_write_b8 v130, v19 offset:8
	ds_write_b8_d16_hi v130, v7 offset:16
	ds_write_b8 v130, v21 offset:24
	ds_write_b8 v130, v38 offset:32
	ds_write_b8 v130, v24 offset:40
	ds_write_b8_d16_hi v130, v38 offset:48
	ds_write_b8 v130, v25 offset:56
	ds_write_b8 v130, v6 offset:128
	;; [unrolled: 4-line block ×3, first 2 shown]
	ds_write_b8 v130, v69 offset:168
	ds_write_b8_d16_hi v130, v18 offset:176
	ds_write_b8 v130, v70 offset:184
	s_waitcnt lgkmcnt(0)
	s_barrier
	buffer_load_dword v6, off, s[0:3], s32 offset:1592 ; 4-byte Folded Reload
	s_waitcnt vmcnt(0)
	v_add_u32_e32 v18, v6, v3
	ds_read_b64 v[6:7], v3
	ds_read_b64 v[38:39], v18
	s_waitcnt lgkmcnt(0)
	s_barrier
	s_and_saveexec_b64 s[10:11], vcc
	s_cbranch_execz .LBB1_92
; %bb.87:                               ;   in Loop: Header=BB1_44 Depth=1
	buffer_load_dword v19, off, s[0:3], s32 offset:1452 ; 4-byte Folded Reload
	v_readfirstlane_b32 s6, v244
	v_accvgpr_read_b32 v21, a224
	s_mov_b64 s[24:25], exec
	s_waitcnt vmcnt(0)
	v_lshl_add_u32 v19, s6, 5, v19
	v_mul_lo_u32 v19, v19, v21
	buffer_load_dword v21, off, s[0:3], s32 offset:1456 ; 4-byte Folded Reload
	s_waitcnt vmcnt(0)
	v_add3_u32 v19, v21, v52, v19
	v_add_u32_e32 v21, 0xffffff80, v19
.LBB1_88:                               ;   Parent Loop BB1_44 Depth=1
                                        ; =>  This Inner Loop Header: Depth=2
	v_readfirstlane_b32 s16, v22
	v_readfirstlane_b32 s17, v23
	;; [unrolled: 1-line block ×4, first 2 shown]
	v_cmp_eq_u64_e64 s[6:7], s[16:17], v[22:23]
	v_cmp_eq_u64_e64 s[8:9], s[18:19], v[16:17]
	s_and_b64 s[6:7], s[6:7], s[8:9]
	s_and_saveexec_b64 s[6:7], s[6:7]
	s_nop 0
	buffer_store_dwordx2 v[6:7], v21, s[16:19], 0 offen
                                        ; implicit-def: $vgpr21
	s_xor_b64 exec, exec, s[6:7]
	s_cbranch_execnz .LBB1_88
; %bb.89:                               ;   in Loop: Header=BB1_44 Depth=1
	s_mov_b64 exec, s[24:25]
	v_add_u32_e32 v19, 0xffffff90, v19
	s_mov_b64 s[24:25], exec
.LBB1_90:                               ;   Parent Loop BB1_44 Depth=1
                                        ; =>  This Inner Loop Header: Depth=2
	v_readfirstlane_b32 s16, v22
	v_readfirstlane_b32 s17, v23
	;; [unrolled: 1-line block ×4, first 2 shown]
	v_cmp_eq_u64_e64 s[6:7], s[16:17], v[22:23]
	v_cmp_eq_u64_e64 s[8:9], s[18:19], v[16:17]
	s_and_b64 s[6:7], s[6:7], s[8:9]
	s_and_saveexec_b64 s[6:7], s[6:7]
	s_nop 0
	buffer_store_dwordx2 v[38:39], v19, s[16:19], 0 offen
                                        ; implicit-def: $vgpr19
	s_xor_b64 exec, exec, s[6:7]
	s_cbranch_execnz .LBB1_90
; %bb.91:                               ;   in Loop: Header=BB1_44 Depth=1
	s_mov_b64 exec, s[24:25]
	v_accvgpr_read_b32 v244, a241
.LBB1_92:                               ;   in Loop: Header=BB1_44 Depth=1
	s_or_b64 exec, exec, s[10:11]
	buffer_load_dword v180, off, s[0:3], s32 offset:1448 ; 4-byte Folded Reload
	v_or_b32_e32 v19, 1, v10
	v_xor_b32_e32 v19, v19, v181
	v_xor_b32_e32 v19, s15, v19
	v_mad_u64_u32 v[24:25], s[6:7], v19, s47, 0
	v_xor_b32_e32 v19, s52, v25
	v_mad_u64_u32 v[68:69], s[6:7], v19, s46, 0
	v_xor_b32_e32 v21, s38, v69
	v_xor_b32_e32 v21, v21, v182
	v_xor_b32_e32 v19, v11, v24
	v_mad_u64_u32 v[176:177], s[6:7], v21, s47, 0
	v_mad_u64_u32 v[24:25], s[6:7], v19, s46, 0
	v_xor_b32_e32 v19, s39, v177
	v_xor_b32_e32 v19, v19, v192
	v_xor_b32_e32 v21, s40, v25
	v_xor_b32_e32 v21, v21, v68
	v_mad_u64_u32 v[68:69], s[6:7], v19, s46, 0
	v_mad_u64_u32 v[178:179], s[6:7], v21, s47, 0
	v_xor_b32_e32 v21, s42, v69
	;; [unrolled: 6-line block ×4, first 2 shown]
	v_xor_b32_e32 v19, v179, v176
	v_xor_b32_e32 v21, s45, v21
	v_readfirstlane_b32 s6, v244
	v_xor_b32_e32 v19, s34, v19
	v_lshrrev_b32_e32 v176, 24, v21
	v_lshrrev_b32_e32 v177, 8, v68
	;; [unrolled: 1-line block ×8, first 2 shown]
	s_waitcnt vmcnt(0)
	v_lshl_add_u32 v180, s6, 8, v180
	ds_write_b8 v180, v19
	ds_write_b8 v180, v24 offset:8
	ds_write_b8_d16_hi v180, v19 offset:16
	ds_write_b8 v180, v25 offset:24
	ds_write_b8 v180, v178 offset:32
	ds_write_b8 v180, v69 offset:40
	ds_write_b8_d16_hi v180, v178 offset:48
	ds_write_b8 v180, v70 offset:56
	ds_write_b8 v180, v21 offset:128
	;; [unrolled: 4-line block ×3, first 2 shown]
	ds_write_b8 v180, v177 offset:168
	ds_write_b8_d16_hi v180, v68 offset:176
	ds_write_b8 v180, v179 offset:184
	s_waitcnt lgkmcnt(0)
	s_barrier
	ds_read_b64 v[176:177], v3
	ds_read_b64 v[178:179], v18
	s_waitcnt lgkmcnt(0)
	s_barrier
	s_and_saveexec_b64 s[10:11], vcc
	s_cbranch_execz .LBB1_98
; %bb.93:                               ;   in Loop: Header=BB1_44 Depth=1
	buffer_load_dword v19, off, s[0:3], s32 offset:1452 ; 4-byte Folded Reload
	v_readfirstlane_b32 s6, v244
	v_accvgpr_read_b32 v21, a224
	s_mov_b64 s[24:25], exec
	s_waitcnt vmcnt(0)
	v_lshl_add_u32 v19, s6, 5, v19
	v_mul_lo_u32 v19, v19, v21
	buffer_load_dword v21, off, s[0:3], s32 offset:1456 ; 4-byte Folded Reload
	s_waitcnt vmcnt(0)
	v_add3_u32 v19, v21, v52, v19
	v_add_u32_e32 v21, 0xffffffa0, v19
.LBB1_94:                               ;   Parent Loop BB1_44 Depth=1
                                        ; =>  This Inner Loop Header: Depth=2
	v_readfirstlane_b32 s16, v22
	v_readfirstlane_b32 s17, v23
	;; [unrolled: 1-line block ×4, first 2 shown]
	v_cmp_eq_u64_e64 s[6:7], s[16:17], v[22:23]
	v_cmp_eq_u64_e64 s[8:9], s[18:19], v[16:17]
	s_and_b64 s[6:7], s[6:7], s[8:9]
	s_and_saveexec_b64 s[6:7], s[6:7]
	s_nop 0
	buffer_store_dwordx2 v[176:177], v21, s[16:19], 0 offen
                                        ; implicit-def: $vgpr21
	s_xor_b64 exec, exec, s[6:7]
	s_cbranch_execnz .LBB1_94
; %bb.95:                               ;   in Loop: Header=BB1_44 Depth=1
	s_mov_b64 exec, s[24:25]
	v_add_u32_e32 v19, 0xffffffb0, v19
	s_mov_b64 s[24:25], exec
.LBB1_96:                               ;   Parent Loop BB1_44 Depth=1
                                        ; =>  This Inner Loop Header: Depth=2
	v_readfirstlane_b32 s16, v22
	v_readfirstlane_b32 s17, v23
	;; [unrolled: 1-line block ×4, first 2 shown]
	v_cmp_eq_u64_e64 s[6:7], s[16:17], v[22:23]
	v_cmp_eq_u64_e64 s[8:9], s[18:19], v[16:17]
	s_and_b64 s[6:7], s[6:7], s[8:9]
	s_and_saveexec_b64 s[6:7], s[6:7]
	s_nop 0
	buffer_store_dwordx2 v[178:179], v19, s[16:19], 0 offen
                                        ; implicit-def: $vgpr19
	s_xor_b64 exec, exec, s[6:7]
	s_cbranch_execnz .LBB1_96
; %bb.97:                               ;   in Loop: Header=BB1_44 Depth=1
	s_mov_b64 exec, s[24:25]
	v_accvgpr_read_b32 v244, a241
.LBB1_98:                               ;   in Loop: Header=BB1_44 Depth=1
	s_or_b64 exec, exec, s[10:11]
	v_or_b32_e32 v19, 2, v10
	v_xor_b32_e32 v19, v19, v181
	v_xor_b32_e32 v19, s15, v19
	v_mad_u64_u32 v[24:25], s[6:7], v19, s47, 0
	v_xor_b32_e32 v19, s52, v25
	v_mad_u64_u32 v[68:69], s[6:7], v19, s46, 0
	v_xor_b32_e32 v19, v11, v24
	v_xor_b32_e32 v21, s38, v69
	v_xor_b32_e32 v21, v21, v182
	v_mad_u64_u32 v[24:25], s[6:7], v19, s46, 0
	v_mad_u64_u32 v[194:195], s[6:7], v21, s47, 0
	v_xor_b32_e32 v21, s40, v25
	v_xor_b32_e32 v19, s39, v195
	v_xor_b32_e32 v21, v21, v68
	v_xor_b32_e32 v19, v19, v192
	v_mad_u64_u32 v[196:197], s[6:7], v21, s47, 0
	v_mad_u64_u32 v[68:69], s[6:7], v19, s46, 0
	v_xor_b32_e32 v19, s41, v197
	;; [unrolled: 6-line block ×4, first 2 shown]
	buffer_load_dword v194, off, s[0:3], s32 offset:1448 ; 4-byte Folded Reload
	v_xor_b32_e32 v21, v69, v24
	v_readfirstlane_b32 s6, v244
	v_xor_b32_e32 v19, s34, v19
	v_xor_b32_e32 v21, s45, v21
	v_lshrrev_b32_e32 v24, 8, v19
	v_lshrrev_b32_e32 v25, 24, v19
	;; [unrolled: 1-line block ×8, first 2 shown]
	s_waitcnt vmcnt(0)
	v_lshl_add_u32 v194, s6, 8, v194
	ds_write_b8 v194, v19
	ds_write_b8 v194, v24 offset:8
	ds_write_b8_d16_hi v194, v19 offset:16
	ds_write_b8 v194, v25 offset:24
	ds_write_b8 v194, v196 offset:32
	ds_write_b8 v194, v69 offset:40
	ds_write_b8_d16_hi v194, v196 offset:48
	ds_write_b8 v194, v70 offset:56
	ds_write_b8 v194, v21 offset:128
	ds_write_b8 v194, v130 offset:136
	ds_write_b8_d16_hi v194, v21 offset:144
	ds_write_b8 v194, v180 offset:152
	ds_write_b8 v194, v68 offset:160
	ds_write_b8 v194, v183 offset:168
	ds_write_b8_d16_hi v194, v68 offset:176
	ds_write_b8 v194, v193 offset:184
	s_waitcnt lgkmcnt(0)
	s_barrier
	ds_read_b64 v[194:195], v3
	ds_read_b64 v[196:197], v18
	s_waitcnt lgkmcnt(0)
	s_barrier
	s_and_saveexec_b64 s[10:11], vcc
	s_cbranch_execz .LBB1_104
; %bb.99:                               ;   in Loop: Header=BB1_44 Depth=1
	buffer_load_dword v19, off, s[0:3], s32 offset:1452 ; 4-byte Folded Reload
	v_readfirstlane_b32 s6, v244
	v_accvgpr_read_b32 v21, a224
	s_mov_b64 s[24:25], exec
	s_waitcnt vmcnt(0)
	v_lshl_add_u32 v19, s6, 5, v19
	v_mul_lo_u32 v19, v19, v21
	buffer_load_dword v21, off, s[0:3], s32 offset:1456 ; 4-byte Folded Reload
	s_waitcnt vmcnt(0)
	v_add3_u32 v19, v21, v52, v19
	v_subrev_u32_e32 v21, 64, v19
.LBB1_100:                              ;   Parent Loop BB1_44 Depth=1
                                        ; =>  This Inner Loop Header: Depth=2
	v_readfirstlane_b32 s16, v22
	v_readfirstlane_b32 s17, v23
	;; [unrolled: 1-line block ×4, first 2 shown]
	v_cmp_eq_u64_e64 s[6:7], s[16:17], v[22:23]
	v_cmp_eq_u64_e64 s[8:9], s[18:19], v[16:17]
	s_and_b64 s[6:7], s[6:7], s[8:9]
	s_and_saveexec_b64 s[6:7], s[6:7]
	s_nop 0
	buffer_store_dwordx2 v[194:195], v21, s[16:19], 0 offen
                                        ; implicit-def: $vgpr21
	s_xor_b64 exec, exec, s[6:7]
	s_cbranch_execnz .LBB1_100
; %bb.101:                              ;   in Loop: Header=BB1_44 Depth=1
	s_mov_b64 exec, s[24:25]
	v_subrev_u32_e32 v19, 48, v19
	s_mov_b64 s[24:25], exec
.LBB1_102:                              ;   Parent Loop BB1_44 Depth=1
                                        ; =>  This Inner Loop Header: Depth=2
	v_readfirstlane_b32 s16, v22
	v_readfirstlane_b32 s17, v23
	;; [unrolled: 1-line block ×4, first 2 shown]
	v_cmp_eq_u64_e64 s[6:7], s[16:17], v[22:23]
	v_cmp_eq_u64_e64 s[8:9], s[18:19], v[16:17]
	s_and_b64 s[6:7], s[6:7], s[8:9]
	s_and_saveexec_b64 s[6:7], s[6:7]
	s_nop 0
	buffer_store_dwordx2 v[196:197], v19, s[16:19], 0 offen
                                        ; implicit-def: $vgpr19
	s_xor_b64 exec, exec, s[6:7]
	s_cbranch_execnz .LBB1_102
; %bb.103:                              ;   in Loop: Header=BB1_44 Depth=1
	s_mov_b64 exec, s[24:25]
	v_accvgpr_read_b32 v244, a241
.LBB1_104:                              ;   in Loop: Header=BB1_44 Depth=1
	s_or_b64 exec, exec, s[10:11]
	v_or_b32_e32 v10, 3, v10
	v_xor_b32_e32 v10, v10, v181
	v_xor_b32_e32 v10, s15, v10
	v_mad_u64_u32 v[24:25], s[6:7], v10, s47, 0
	v_xor_b32_e32 v10, s52, v25
	v_mad_u64_u32 v[68:69], s[6:7], v10, s46, 0
	v_xor_b32_e32 v10, v11, v24
	v_xor_b32_e32 v11, s38, v69
	;; [unrolled: 1-line block ×3, first 2 shown]
	buffer_load_dword v182, off, s[0:3], s32 offset:1448 ; 4-byte Folded Reload
	v_mad_u64_u32 v[10:11], s[6:7], v10, s46, 0
	v_mad_u64_u32 v[24:25], s[6:7], v19, s47, 0
	v_xor_b32_e32 v19, s39, v25
	v_xor_b32_e32 v11, s40, v11
	v_xor_b32_e32 v19, v19, v192
	v_xor_b32_e32 v11, v11, v68
	v_mad_u64_u32 v[68:69], s[6:7], v19, s46, 0
	v_mad_u64_u32 v[180:181], s[6:7], v11, s47, 0
	v_xor_b32_e32 v11, s41, v181
	v_xor_b32_e32 v19, s42, v69
	v_xor_b32_e32 v11, v11, v24
	v_xor_b32_e32 v19, v19, v10
	;; [unrolled: 6-line block ×3, first 2 shown]
	v_mad_u64_u32 v[68:69], s[6:7], v19, s46, 0
	v_mad_u64_u32 v[180:181], s[6:7], v11, s47, 0
	v_xor_b32_e32 v11, v181, v24
	v_xor_b32_e32 v10, v69, v10
	v_readfirstlane_b32 s6, v244
	v_xor_b32_e32 v11, s34, v11
	v_xor_b32_e32 v10, s45, v10
	v_lshrrev_b32_e32 v181, 24, v68
	v_lshrrev_b32_e32 v19, 8, v11
	v_lshrrev_b32_e32 v21, 24, v11
	v_lshrrev_b32_e32 v24, 8, v180
	v_lshrrev_b32_e32 v25, 24, v180
	v_lshrrev_b32_e32 v69, 8, v10
	v_lshrrev_b32_e32 v70, 24, v10
	v_lshrrev_b32_e32 v130, 8, v68
	s_waitcnt vmcnt(0)
	v_lshl_add_u32 v182, s6, 8, v182
	ds_write_b8 v182, v11
	ds_write_b8 v182, v19 offset:8
	ds_write_b8_d16_hi v182, v11 offset:16
	ds_write_b8 v182, v21 offset:24
	ds_write_b8 v182, v180 offset:32
	ds_write_b8 v182, v24 offset:40
	ds_write_b8_d16_hi v182, v180 offset:48
	ds_write_b8 v182, v25 offset:56
	ds_write_b8 v182, v10 offset:128
	;; [unrolled: 4-line block ×3, first 2 shown]
	ds_write_b8 v182, v130 offset:168
	ds_write_b8_d16_hi v182, v68 offset:176
	ds_write_b8 v182, v181 offset:184
	s_waitcnt lgkmcnt(0)
	s_barrier
	ds_read_b64 v[180:181], v3
	ds_read_b64 v[182:183], v18
	s_waitcnt lgkmcnt(0)
	s_barrier
	s_and_saveexec_b64 s[10:11], vcc
	s_cbranch_execz .LBB1_110
; %bb.105:                              ;   in Loop: Header=BB1_44 Depth=1
	buffer_load_dword v3, off, s[0:3], s32 offset:1452 ; 4-byte Folded Reload
	v_readfirstlane_b32 s6, v244
	v_accvgpr_read_b32 v10, a224
	s_mov_b64 s[24:25], exec
	s_waitcnt vmcnt(0)
	v_lshl_add_u32 v3, s6, 5, v3
	v_mul_lo_u32 v3, v3, v10
	buffer_load_dword v10, off, s[0:3], s32 offset:1456 ; 4-byte Folded Reload
	s_waitcnt vmcnt(0)
	v_add3_u32 v3, v10, v52, v3
	v_subrev_u32_e32 v10, 32, v3
.LBB1_106:                              ;   Parent Loop BB1_44 Depth=1
                                        ; =>  This Inner Loop Header: Depth=2
	v_readfirstlane_b32 s16, v22
	v_readfirstlane_b32 s17, v23
	;; [unrolled: 1-line block ×4, first 2 shown]
	v_cmp_eq_u64_e64 s[6:7], s[16:17], v[22:23]
	v_cmp_eq_u64_e64 s[8:9], s[18:19], v[16:17]
	s_and_b64 s[6:7], s[6:7], s[8:9]
	s_and_saveexec_b64 s[6:7], s[6:7]
	s_nop 0
	buffer_store_dwordx2 v[180:181], v10, s[16:19], 0 offen
                                        ; implicit-def: $vgpr10
	s_xor_b64 exec, exec, s[6:7]
	s_cbranch_execnz .LBB1_106
; %bb.107:                              ;   in Loop: Header=BB1_44 Depth=1
	s_mov_b64 exec, s[24:25]
	v_add_u32_e32 v3, -16, v3
	s_mov_b64 s[24:25], exec
.LBB1_108:                              ;   Parent Loop BB1_44 Depth=1
                                        ; =>  This Inner Loop Header: Depth=2
	v_readfirstlane_b32 s16, v22
	v_readfirstlane_b32 s17, v23
	;; [unrolled: 1-line block ×4, first 2 shown]
	v_cmp_eq_u64_e64 s[6:7], s[16:17], v[22:23]
	v_cmp_eq_u64_e64 s[8:9], s[18:19], v[16:17]
	s_and_b64 s[6:7], s[6:7], s[8:9]
	s_and_saveexec_b64 s[6:7], s[6:7]
	s_nop 0
	buffer_store_dwordx2 v[182:183], v3, s[16:19], 0 offen
                                        ; implicit-def: $vgpr3
	s_xor_b64 exec, exec, s[6:7]
	s_cbranch_execnz .LBB1_108
; %bb.109:                              ;   in Loop: Header=BB1_44 Depth=1
	s_mov_b64 exec, s[24:25]
	v_accvgpr_read_b32 v244, a241
.LBB1_110:                              ;   in Loop: Header=BB1_44 Depth=1
	s_or_b64 exec, exec, s[10:11]
	v_lshrrev_b32_e32 v18, 8, v197
	v_and_b32_e32 v193, 0xff, v18
	v_lshrrev_b32_e32 v18, 8, v196
	v_and_b32_e32 v11, 0xff, v196
	v_and_b32_e32 v25, 0xff, v197
	v_lshrrev_b32_e32 v130, 24, v197
	v_and_b32_sdwa v192, v197, s48 dst_sel:DWORD dst_unused:UNUSED_PAD src0_sel:WORD_1 src1_sel:DWORD
	v_lshrrev_b32_e32 v24, 24, v196
	v_and_b32_sdwa v197, v196, s48 dst_sel:DWORD dst_unused:UNUSED_PAD src0_sel:WORD_1 src1_sel:DWORD
	v_and_b32_e32 v196, 0xff, v18
	v_lshrrev_b32_e32 v18, 8, v195
	v_and_b32_e32 v3, 0xff, v194
	v_and_b32_e32 v10, 0xff, v195
	v_lshrrev_b32_e32 v19, 24, v195
	v_and_b32_sdwa v243, v195, s48 dst_sel:DWORD dst_unused:UNUSED_PAD src0_sel:WORD_1 src1_sel:DWORD
	v_and_b32_e32 v195, 0xff, v18
	v_lshrrev_b32_e32 v18, 8, v194
	v_and_b32_e32 v68, 0xff, v18
	v_mul_f32_e32 v18, v48, v242
	v_cmp_ge_u16_sdwa s[6:7], v254, v3 src0_sel:BYTE_0 src1_sel:DWORD
	v_and_b32_sdwa v69, v194, s48 dst_sel:DWORD dst_unused:UNUSED_PAD src0_sel:WORD_1 src1_sel:DWORD
	v_cndmask_b32_e64 v18, 0, v18, s[6:7]
	v_mul_f32_e32 v3, v48, v241
	v_cmp_ge_u16_sdwa s[6:7], v254, v68 src0_sel:BYTE_0 src1_sel:DWORD
	v_lshrrev_b32_e32 v21, 24, v194
	v_cndmask_b32_e64 v68, 0, v3, s[6:7]
	v_mul_f32_e32 v3, v48, v240
	v_cmp_ge_u16_sdwa s[6:7], v254, v69 src0_sel:BYTE_0 src1_sel:DWORD
	v_cndmask_b32_e64 v69, 0, v3, s[6:7]
	v_mul_f32_e32 v3, v48, v151
	v_cmp_ge_u16_sdwa s[6:7], v254, v21 src0_sel:BYTE_0 src1_sel:DWORD
	;; [unrolled: 3-line block ×14, first 2 shown]
	v_cndmask_b32_e64 v252, 0, v131, s[6:7]
	v_and_b32_e32 v130, 0xff, v176
	v_and_b32_e32 v131, 0xff, v177
	v_lshrrev_b32_e32 v148, 24, v177
	v_and_b32_sdwa v149, v177, s48 dst_sel:DWORD dst_unused:UNUSED_PAD src0_sel:WORD_1 src1_sel:DWORD
	v_lshrrev_b32_e32 v150, 8, v177
	v_lshrrev_b32_e32 v151, 24, v176
	v_and_b32_sdwa v177, v176, s48 dst_sel:DWORD dst_unused:UNUSED_PAD src0_sel:WORD_1 src1_sel:DWORD
	v_lshrrev_b32_e32 v176, 8, v176
	v_and_b32_e32 v176, 0xff, v176
	v_mul_f32_e32 v117, v48, v117
	v_cmp_ge_u16_sdwa s[6:7], v254, v130 src0_sel:BYTE_0 src1_sel:DWORD
	v_cndmask_b32_e64 v117, 0, v117, s[6:7]
	v_mul_f32_e32 v119, v48, v119
	v_cmp_ge_u16_sdwa s[6:7], v254, v176 src0_sel:BYTE_0 src1_sel:DWORD
	v_cndmask_b32_e64 v119, 0, v119, s[6:7]
	;; [unrolled: 3-line block ×3, first 2 shown]
	v_mul_f32_e32 v129, v48, v129
	v_cmp_ge_u16_sdwa s[6:7], v254, v151 src0_sel:BYTE_0 src1_sel:DWORD
	v_and_b32_e32 v150, 0xff, v150
	v_cndmask_b32_e64 v129, 0, v129, s[6:7]
	v_mul_f32_e32 v114, v48, v114
	v_cmp_ge_u16_sdwa s[6:7], v254, v131 src0_sel:BYTE_0 src1_sel:DWORD
	v_cndmask_b32_e64 v114, 0, v114, s[6:7]
	v_mul_f32_e32 v115, v48, v115
	v_cmp_ge_u16_sdwa s[6:7], v254, v150 src0_sel:BYTE_0 src1_sel:DWORD
	v_cndmask_b32_e64 v115, 0, v115, s[6:7]
	v_mul_f32_e32 v116, v48, v116
	v_cmp_ge_u16_sdwa s[6:7], v254, v149 src0_sel:BYTE_0 src1_sel:DWORD
	v_and_b32_e32 v132, 0xff, v178
	v_lshrrev_b32_e32 v147, 8, v178
	v_cndmask_b32_e64 v116, 0, v116, s[6:7]
	v_mul_f32_e32 v118, v48, v118
	v_cmp_ge_u16_sdwa s[6:7], v254, v148 src0_sel:BYTE_0 src1_sel:DWORD
	v_and_b32_e32 v147, 0xff, v147
	v_cndmask_b32_e64 v118, 0, v118, s[6:7]
	v_mul_f32_e32 v97, v48, v97
	v_cmp_ge_u16_sdwa s[6:7], v254, v132 src0_sel:BYTE_0 src1_sel:DWORD
	v_and_b32_sdwa v146, v178, s48 dst_sel:DWORD dst_unused:UNUSED_PAD src0_sel:WORD_1 src1_sel:DWORD
	v_cndmask_b32_e64 v97, 0, v97, s[6:7]
	v_mul_f32_e32 v99, v48, v99
	v_cmp_ge_u16_sdwa s[6:7], v254, v147 src0_sel:BYTE_0 src1_sel:DWORD
	v_lshrrev_b32_e32 v145, 24, v178
	v_cndmask_b32_e64 v99, 0, v99, s[6:7]
	v_mul_f32_e32 v100, v48, v100
	v_cmp_ge_u16_sdwa s[6:7], v254, v146 src0_sel:BYTE_0 src1_sel:DWORD
	v_and_b32_e32 v133, 0xff, v179
	v_lshrrev_b32_e32 v144, 8, v179
	v_cndmask_b32_e64 v100, 0, v100, s[6:7]
	v_mul_f32_e32 v101, v48, v101
	v_cmp_ge_u16_sdwa s[6:7], v254, v145 src0_sel:BYTE_0 src1_sel:DWORD
	v_and_b32_e32 v144, 0xff, v144
	v_cndmask_b32_e64 v101, 0, v101, s[6:7]
	v_mul_f32_e32 v102, v48, v102
	v_cmp_ge_u16_sdwa s[6:7], v254, v133 src0_sel:BYTE_0 src1_sel:DWORD
	v_and_b32_sdwa v135, v179, s48 dst_sel:DWORD dst_unused:UNUSED_PAD src0_sel:WORD_1 src1_sel:DWORD
	v_cndmask_b32_e64 v102, 0, v102, s[6:7]
	v_mul_f32_e32 v103, v48, v103
	v_cmp_ge_u16_sdwa s[6:7], v254, v144 src0_sel:BYTE_0 src1_sel:DWORD
	v_lshrrev_b32_e32 v134, 24, v179
	v_cndmask_b32_e64 v103, 0, v103, s[6:7]
	v_mul_f32_e32 v112, v48, v112
	v_cmp_ge_u16_sdwa s[6:7], v254, v135 src0_sel:BYTE_0 src1_sel:DWORD
	v_cndmask_b32_e64 v112, 0, v112, s[6:7]
	v_mul_f32_e32 v113, v48, v113
	v_cmp_ge_u16_sdwa s[6:7], v254, v134 src0_sel:BYTE_0 src1_sel:DWORD
	v_and_b32_e32 v130, 0xff, v6
	v_lshrrev_b32_e32 v146, 24, v6
	v_and_b32_sdwa v147, v6, s48 dst_sel:DWORD dst_unused:UNUSED_PAD src0_sel:WORD_1 src1_sel:DWORD
	v_lshrrev_b32_e32 v6, 8, v6
	v_cndmask_b32_e64 v113, 0, v113, s[6:7]
	v_and_b32_e32 v6, 0xff, v6
	v_mul_f32_e32 v0, v48, v0
	v_cmp_ge_u16_sdwa s[6:7], v254, v130 src0_sel:BYTE_0 src1_sel:DWORD
	v_cndmask_b32_e64 v0, 0, v0, s[6:7]
	v_mul_f32_e32 v98, v48, v98
	v_cmp_ge_u16_sdwa s[6:7], v254, v6 src0_sel:BYTE_0 src1_sel:DWORD
	v_cndmask_b32_e64 v149, 0, v98, s[6:7]
	v_mul_f32_e32 v6, v48, v96
	v_cmp_ge_u16_sdwa s[6:7], v254, v147 src0_sel:BYTE_0 src1_sel:DWORD
	v_and_b32_e32 v131, 0xff, v7
	v_lshrrev_b32_e32 v148, 24, v7
	v_and_b32_sdwa v176, v7, s48 dst_sel:DWORD dst_unused:UNUSED_PAD src0_sel:WORD_1 src1_sel:DWORD
	v_lshrrev_b32_e32 v7, 8, v7
	v_cndmask_b32_e64 v150, 0, v6, s[6:7]
	v_mul_f32_e32 v6, v48, v87
	v_cmp_ge_u16_sdwa s[6:7], v254, v146 src0_sel:BYTE_0 src1_sel:DWORD
	v_and_b32_e32 v7, 0xff, v7
	v_cndmask_b32_e64 v151, 0, v6, s[6:7]
	v_mul_f32_e32 v6, v48, v86
	v_cmp_ge_u16_sdwa s[6:7], v254, v131 src0_sel:BYTE_0 src1_sel:DWORD
	v_cndmask_b32_e64 v146, 0, v6, s[6:7]
	v_mul_f32_e32 v6, v48, v85
	v_cmp_ge_u16_sdwa s[6:7], v254, v7 src0_sel:BYTE_0 src1_sel:DWORD
	v_cndmask_b32_e64 v147, 0, v6, s[6:7]
	v_mul_f32_e32 v1, v48, v1
	v_cmp_ge_u16_sdwa s[6:7], v254, v176 src0_sel:BYTE_0 src1_sel:DWORD
	v_and_b32_e32 v132, 0xff, v38
	v_lshrrev_b32_e32 v133, 24, v38
	v_and_b32_sdwa v135, v38, s48 dst_sel:DWORD dst_unused:UNUSED_PAD src0_sel:WORD_1 src1_sel:DWORD
	v_lshrrev_b32_e32 v38, 8, v38
	v_cndmask_b32_e64 v1, 0, v1, s[6:7]
	v_mul_f32_e32 v6, v48, v84
	v_cmp_ge_u16_sdwa s[6:7], v254, v148 src0_sel:BYTE_0 src1_sel:DWORD
	v_and_b32_e32 v38, 0xff, v38
	v_cndmask_b32_e64 v148, 0, v6, s[6:7]
	v_mul_f32_e32 v6, v48, v83
	v_cmp_ge_u16_sdwa s[6:7], v254, v132 src0_sel:BYTE_0 src1_sel:DWORD
	v_cndmask_b32_e64 v130, 0, v6, s[6:7]
	v_mul_f32_e32 v6, v48, v82
	v_cmp_ge_u16_sdwa s[6:7], v254, v38 src0_sel:BYTE_0 src1_sel:DWORD
	v_cndmask_b32_e64 v131, 0, v6, s[6:7]
	v_mul_f32_e32 v6, v48, v81
	v_cmp_ge_u16_sdwa s[6:7], v254, v135 src0_sel:BYTE_0 src1_sel:DWORD
	v_and_b32_e32 v134, 0xff, v39
	v_lshrrev_b32_e32 v145, 24, v39
	v_and_b32_sdwa v144, v39, s48 dst_sel:DWORD dst_unused:UNUSED_PAD src0_sel:WORD_1 src1_sel:DWORD
	v_lshrrev_b32_e32 v39, 8, v39
	v_cndmask_b32_e64 v132, 0, v6, s[6:7]
	v_mul_f32_e32 v6, v48, v80
	v_cmp_ge_u16_sdwa s[6:7], v254, v133 src0_sel:BYTE_0 src1_sel:DWORD
	v_and_b32_e32 v39, 0xff, v39
	v_cndmask_b32_e64 v133, 0, v6, s[6:7]
	v_mul_f32_e32 v6, v48, v71
	v_cmp_ge_u16_sdwa s[6:7], v254, v134 src0_sel:BYTE_0 src1_sel:DWORD
	v_cndmask_b32_e64 v134, 0, v6, s[6:7]
	v_mul_f32_e32 v6, v48, v67
	v_cmp_ge_u16_sdwa s[6:7], v254, v39 src0_sel:BYTE_0 src1_sel:DWORD
	v_cndmask_b32_e64 v135, 0, v6, s[6:7]
	v_mul_f32_e32 v6, v48, v65
	v_cmp_ge_u16_sdwa s[6:7], v254, v144 src0_sel:BYTE_0 src1_sel:DWORD
	v_lshrrev_b32_e32 v71, 8, v180
	v_cndmask_b32_e64 v144, 0, v6, s[6:7]
	v_mul_f32_e32 v7, v48, v20
	v_cmp_ge_u16_sdwa s[6:7], v254, v145 src0_sel:BYTE_0 src1_sel:DWORD
	v_and_b32_e32 v71, 0xff, v71
	v_sub_f32_e32 v2, v66, v2
	v_cndmask_b32_e64 v145, 0, v7, s[6:7]
	v_lshrrev_b32_e32 v66, 8, v181
	v_lshrrev_b32_e32 v67, 24, v180
	v_mul_f32_e32 v81, v48, v214
	v_cmp_ge_u16_sdwa s[6:7], v254, v71 src0_sel:BYTE_0 src1_sel:DWORD
	v_and_b32_e32 v66, 0xff, v66
	v_cndmask_b32_e64 v83, 0, v81, s[6:7]
	v_mul_f32_e32 v81, v48, v215
	v_cmp_ge_u16_sdwa s[6:7], v254, v67 src0_sel:BYTE_0 src1_sel:DWORD
	v_lshrrev_b32_e32 v38, 8, v182
	v_lshrrev_b32_e32 v39, 24, v181
	v_cndmask_b32_e64 v84, 0, v81, s[6:7]
	v_mul_f32_e32 v67, v48, v224
	v_cmp_ge_u16_sdwa s[6:7], v254, v66 src0_sel:BYTE_0 src1_sel:DWORD
	v_exp_f32_e32 v6, v2
	v_lshrrev_b32_e32 v2, 8, v183
	v_and_b32_e32 v38, 0xff, v38
	v_cndmask_b32_e64 v81, 0, v67, s[6:7]
	v_mul_f32_e32 v66, v48, v225
	v_cmp_ge_u16_sdwa s[6:7], v254, v39 src0_sel:BYTE_0 src1_sel:DWORD
	v_and_b32_e32 v7, 0xff, v2
	v_lshrrev_b32_e32 v2, 24, v182
	v_cndmask_b32_e64 v82, 0, v66, s[6:7]
	v_mul_f32_e32 v39, v48, v226
	v_cmp_ge_u16_sdwa s[6:7], v254, v38 src0_sel:BYTE_0 src1_sel:DWORD
	v_cndmask_b32_e64 v67, 0, v39, s[6:7]
	v_mul_f32_e32 v38, v48, v227
	v_cmp_ge_u16_sdwa s[6:7], v254, v2 src0_sel:BYTE_0 src1_sel:DWORD
	v_lshrrev_b32_e32 v20, 24, v183
	v_cndmask_b32_e64 v2, 0, v38, s[6:7]
	v_mul_f32_e32 v38, v48, v228
	v_cmp_ge_u16_sdwa s[6:7], v254, v7 src0_sel:BYTE_0 src1_sel:DWORD
	v_cndmask_b32_e64 v7, 0, v38, s[6:7]
	v_cmp_ge_u16_sdwa s[6:7], v254, v20 src0_sel:BYTE_0 src1_sel:DWORD
	s_waitcnt lgkmcnt(0)
	s_barrier
	buffer_load_dword v20, off, s[0:3], s32 offset:1548 ; 4-byte Folded Reload
	v_mul_f32_e32 v38, v48, v229
	v_cndmask_b32_e64 v66, 0, v38, s[6:7]
	v_perm_b32 v38, v26, v30, s49
	v_perm_b32 v86, v26, v30, s50
	;; [unrolled: 1-line block ×8, first 2 shown]
	buffer_load_dword v36, off, s[0:3], s32 offset:1600 ; 4-byte Folded Reload
	v_readfirstlane_b32 s6, v244
	v_perm_b32 v39, v34, v164, s49
	v_perm_b32 v87, v34, v164, s50
	v_perm_b32 v34, v28, v32, s49
	v_perm_b32 v164, v28, v32, s50
	v_perm_b32 v32, v29, v33, s50
	v_perm_b32 v28, v29, v33, s49
	v_perm_b32 v29, v37, v167, s49
	v_perm_b32 v33, v37, v167, s50
	v_mul_f32_e32 v80, v48, v198
	v_mul_f32_e32 v71, v48, v199
	;; [unrolled: 1-line block ×8, first 2 shown]
	v_add_f32_e32 v65, v230, v231
	v_fmac_f32_e32 v65, v58, v6
	s_mov_b64 s[10:11], exec
	s_waitcnt vmcnt(1)
	v_add_u32_e32 v20, s6, v20
	v_mul_lo_u32 v20, v20, s31
	s_waitcnt vmcnt(0)
	v_add_lshl_u32 v98, v36, v20, 1
	ds_write2_b64 v98, v[38:39], v[86:87] offset1:2
	ds_write2_b64 v98, v[26:27], v[30:31] offset0:4 offset1:6
	ds_write2_b64 v98, v[34:35], v[164:165] offset0:8 offset1:10
	;; [unrolled: 1-line block ×3, first 2 shown]
	v_and_b32_e32 v32, 0xff, v180
	v_and_b32_sdwa v31, v180, s48 dst_sel:DWORD dst_unused:UNUSED_PAD src0_sel:WORD_1 src1_sel:DWORD
	v_cmp_ge_u16_sdwa s[6:7], v254, v32 src0_sel:BYTE_0 src1_sel:DWORD
	v_and_b32_e32 v30, 0xff, v181
	v_cndmask_b32_e64 v87, 0, v80, s[6:7]
	v_cmp_ge_u16_sdwa s[6:7], v254, v31 src0_sel:BYTE_0 src1_sel:DWORD
	v_and_b32_sdwa v29, v181, s48 dst_sel:DWORD dst_unused:UNUSED_PAD src0_sel:WORD_1 src1_sel:DWORD
	v_cndmask_b32_e64 v96, 0, v71, s[6:7]
	v_cmp_ge_u16_sdwa s[6:7], v254, v30 src0_sel:BYTE_0 src1_sel:DWORD
	v_and_b32_e32 v28, 0xff, v182
	v_cndmask_b32_e64 v85, 0, v85, s[6:7]
	v_cmp_ge_u16_sdwa s[6:7], v254, v29 src0_sel:BYTE_0 src1_sel:DWORD
	v_and_b32_sdwa v27, v182, s48 dst_sel:DWORD dst_unused:UNUSED_PAD src0_sel:WORD_1 src1_sel:DWORD
	v_cndmask_b32_e64 v86, 0, v176, s[6:7]
	;; [unrolled: 6-line block ×3, first 2 shown]
	v_cmp_ge_u16_sdwa s[6:7], v254, v26 src0_sel:BYTE_0 src1_sel:DWORD
	v_cndmask_b32_e64 v253, 0, v179, s[6:7]
	v_cmp_ge_u16_sdwa s[6:7], v254, v20 src0_sel:BYTE_0 src1_sel:DWORD
	v_cndmask_b32_e64 v20, 0, v192, s[6:7]
	;;#ASMSTART
	
             v_cmp_u_f32 s[6:7], v0, v0 
             v_bfe_u32 v26, v0, 16, 1 
             v_add3_u32 v26, v0, v26, v54 
             v_cndmask_b32 v0, v26, v64, s[6:7] 
             v_lshrrev_b32 v0, 16, v0 
             
	;;#ASMEND
	;;#ASMSTART
	
             v_cmp_u_f32 s[6:7], v149, v149 
             v_bfe_u32 v26, v149, 16, 1 
             v_add3_u32 v26, v149, v26, v54 
             v_cndmask_b32 v149, v26, v64, s[6:7] 
             v_lshrrev_b32 v149, 16, v149 
             
	;;#ASMEND
	;; [unrolled: 9-line block ×64, first 2 shown]
	v_accvgpr_read_b32 v26, a236
	v_add_u32_e32 v30, v53, v26
.LBB1_111:                              ;   Parent Loop BB1_44 Depth=1
                                        ; =>  This Inner Loop Header: Depth=2
	v_readfirstlane_b32 s16, v8
	v_readfirstlane_b32 s17, v9
	;; [unrolled: 1-line block ×4, first 2 shown]
	v_cmp_eq_u64_e64 s[6:7], s[16:17], v[8:9]
	v_cmp_eq_u64_e64 s[8:9], s[18:19], v[238:239]
	s_and_b64 s[6:7], s[6:7], s[8:9]
	s_and_saveexec_b64 s[6:7], s[6:7]
	s_nop 0
	buffer_load_dwordx4 v[26:29], v30, s[16:19], 0 offen
                                        ; implicit-def: $vgpr30
	s_xor_b64 exec, exec, s[6:7]
	s_cbranch_execnz .LBB1_111
; %bb.112:                              ;   in Loop: Header=BB1_44 Depth=1
	s_mov_b64 exec, s[10:11]
	v_accvgpr_read_b32 v30, a235
	v_add_u32_e32 v34, v53, v30
	s_mov_b64 s[10:11], exec
.LBB1_113:                              ;   Parent Loop BB1_44 Depth=1
                                        ; =>  This Inner Loop Header: Depth=2
	v_readfirstlane_b32 s16, v8
	v_readfirstlane_b32 s17, v9
	;; [unrolled: 1-line block ×4, first 2 shown]
	v_cmp_eq_u64_e64 s[6:7], s[16:17], v[8:9]
	v_cmp_eq_u64_e64 s[8:9], s[18:19], v[238:239]
	s_and_b64 s[6:7], s[6:7], s[8:9]
	s_and_saveexec_b64 s[6:7], s[6:7]
	s_nop 0
	buffer_load_dwordx4 v[30:33], v34, s[16:19], 0 offen
                                        ; implicit-def: $vgpr34
	s_xor_b64 exec, exec, s[6:7]
	s_cbranch_execnz .LBB1_113
; %bb.114:                              ;   in Loop: Header=BB1_44 Depth=1
	s_mov_b64 exec, s[10:11]
	v_accvgpr_read_b32 v34, a234
	v_add_u32_e32 v38, v53, v34
	s_mov_b64 s[10:11], exec
.LBB1_115:                              ;   Parent Loop BB1_44 Depth=1
                                        ; =>  This Inner Loop Header: Depth=2
	v_readfirstlane_b32 s16, v8
	v_readfirstlane_b32 s17, v9
	;; [unrolled: 1-line block ×4, first 2 shown]
	v_cmp_eq_u64_e64 s[6:7], s[16:17], v[8:9]
	v_cmp_eq_u64_e64 s[8:9], s[18:19], v[238:239]
	s_and_b64 s[6:7], s[6:7], s[8:9]
	s_and_saveexec_b64 s[6:7], s[6:7]
	s_nop 0
	buffer_load_dwordx4 v[34:37], v38, s[16:19], 0 offen
                                        ; implicit-def: $vgpr38
	s_xor_b64 exec, exec, s[6:7]
	s_cbranch_execnz .LBB1_115
; %bb.116:                              ;   in Loop: Header=BB1_44 Depth=1
	s_mov_b64 exec, s[10:11]
	v_accvgpr_read_b32 v38, a233
	v_add_u32_e32 v164, v53, v38
	s_mov_b64 s[10:11], exec
.LBB1_117:                              ;   Parent Loop BB1_44 Depth=1
                                        ; =>  This Inner Loop Header: Depth=2
	v_readfirstlane_b32 s16, v8
	v_readfirstlane_b32 s17, v9
	;; [unrolled: 1-line block ×4, first 2 shown]
	v_cmp_eq_u64_e64 s[6:7], s[16:17], v[8:9]
	v_cmp_eq_u64_e64 s[8:9], s[18:19], v[238:239]
	s_and_b64 s[6:7], s[6:7], s[8:9]
	s_and_saveexec_b64 s[6:7], s[6:7]
	s_nop 0
	buffer_load_dwordx4 v[38:41], v164, s[16:19], 0 offen
                                        ; implicit-def: $vgpr164
	s_xor_b64 exec, exec, s[6:7]
	s_cbranch_execnz .LBB1_117
; %bb.118:                              ;   in Loop: Header=BB1_44 Depth=1
	s_mov_b64 exec, s[10:11]
	s_waitcnt lgkmcnt(0)
	s_barrier
	ds_read_b128 a[16:19], v15
	ds_read_b128 v[232:235], v15 offset:576
	ds_read_b128 v[216:219], v15 offset:1152
	;; [unrolled: 1-line block ×6, first 2 shown]
	ds_read_b128 v[164:167], v136
	ds_read_b128 v[176:179], v14
	ds_read_b128 v[180:183], v14 offset:576
	ds_read_b128 v[192:195], v14 offset:1152
	;; [unrolled: 1-line block ×6, first 2 shown]
	ds_read_b128 v[228:231], v72
	s_waitcnt vmcnt(2)
	v_perm_b32 v46, v26, v30, s49
	v_perm_b32 v56, v26, v30, s50
	s_waitcnt vmcnt(0)
	v_perm_b32 v47, v34, v38, s49
	v_perm_b32 v57, v34, v38, s50
	;; [unrolled: 1-line block ×3, first 2 shown]
	s_waitcnt lgkmcnt(0)
	s_barrier
	v_perm_b32 v30, v27, v31, s50
	v_perm_b32 v27, v35, v39, s49
	;; [unrolled: 1-line block ×11, first 2 shown]
	ds_write2_b64 v98, v[46:47], v[56:57] offset1:2
	ds_write2_b64 v98, v[26:27], v[30:31] offset0:4 offset1:6
	ds_write2_b64 v98, v[34:35], v[38:39] offset0:8 offset1:10
	;; [unrolled: 1-line block ×3, first 2 shown]
	v_accvgpr_read_b32 v26, a225
	v_add_u32_e32 v30, v53, v26
	s_mov_b64 s[10:11], exec
.LBB1_119:                              ;   Parent Loop BB1_44 Depth=1
                                        ; =>  This Inner Loop Header: Depth=2
	v_readfirstlane_b32 s16, v8
	v_readfirstlane_b32 s17, v9
	;; [unrolled: 1-line block ×4, first 2 shown]
	v_cmp_eq_u64_e64 s[6:7], s[16:17], v[8:9]
	v_cmp_eq_u64_e64 s[8:9], s[18:19], v[238:239]
	s_and_b64 s[6:7], s[6:7], s[8:9]
	s_and_saveexec_b64 s[6:7], s[6:7]
	s_nop 0
	buffer_load_dwordx4 v[26:29], v30, s[16:19], 0 offen
                                        ; implicit-def: $vgpr30
	s_xor_b64 exec, exec, s[6:7]
	s_cbranch_execnz .LBB1_119
; %bb.120:                              ;   in Loop: Header=BB1_44 Depth=1
	s_mov_b64 exec, s[10:11]
	v_accvgpr_read_b32 v30, a232
	v_add_u32_e32 v34, v53, v30
	s_mov_b64 s[10:11], exec
.LBB1_121:                              ;   Parent Loop BB1_44 Depth=1
                                        ; =>  This Inner Loop Header: Depth=2
	v_readfirstlane_b32 s16, v8
	v_readfirstlane_b32 s17, v9
	;; [unrolled: 1-line block ×4, first 2 shown]
	v_cmp_eq_u64_e64 s[6:7], s[16:17], v[8:9]
	v_cmp_eq_u64_e64 s[8:9], s[18:19], v[238:239]
	s_and_b64 s[6:7], s[6:7], s[8:9]
	s_and_saveexec_b64 s[6:7], s[6:7]
	s_nop 0
	buffer_load_dwordx4 v[30:33], v34, s[16:19], 0 offen
                                        ; implicit-def: $vgpr34
	s_xor_b64 exec, exec, s[6:7]
	s_cbranch_execnz .LBB1_121
; %bb.122:                              ;   in Loop: Header=BB1_44 Depth=1
	s_mov_b64 exec, s[10:11]
	v_accvgpr_read_b32 v34, a231
	v_add_u32_e32 v38, v53, v34
	s_mov_b64 s[10:11], exec
.LBB1_123:                              ;   Parent Loop BB1_44 Depth=1
                                        ; =>  This Inner Loop Header: Depth=2
	v_readfirstlane_b32 s16, v8
	v_readfirstlane_b32 s17, v9
	;; [unrolled: 1-line block ×4, first 2 shown]
	v_cmp_eq_u64_e64 s[6:7], s[16:17], v[8:9]
	v_cmp_eq_u64_e64 s[8:9], s[18:19], v[238:239]
	s_and_b64 s[6:7], s[6:7], s[8:9]
	s_and_saveexec_b64 s[6:7], s[6:7]
	s_nop 0
	buffer_load_dwordx4 v[34:37], v38, s[16:19], 0 offen
                                        ; implicit-def: $vgpr38
	s_xor_b64 exec, exec, s[6:7]
	s_cbranch_execnz .LBB1_123
; %bb.124:                              ;   in Loop: Header=BB1_44 Depth=1
	s_mov_b64 exec, s[10:11]
	v_accvgpr_read_b32 v38, a230
	v_add_u32_e32 v46, v53, v38
	s_mov_b64 s[10:11], exec
.LBB1_125:                              ;   Parent Loop BB1_44 Depth=1
                                        ; =>  This Inner Loop Header: Depth=2
	v_readfirstlane_b32 s16, v8
	v_readfirstlane_b32 s17, v9
	;; [unrolled: 1-line block ×4, first 2 shown]
	v_cmp_eq_u64_e64 s[6:7], s[16:17], v[8:9]
	v_cmp_eq_u64_e64 s[8:9], s[18:19], v[238:239]
	s_and_b64 s[6:7], s[6:7], s[8:9]
	s_and_saveexec_b64 s[6:7], s[6:7]
	s_nop 0
	buffer_load_dwordx4 v[38:41], v46, s[16:19], 0 offen
                                        ; implicit-def: $vgpr46
	s_xor_b64 exec, exec, s[6:7]
	s_cbranch_execnz .LBB1_125
; %bb.126:                              ;   in Loop: Header=BB1_44 Depth=1
	s_mov_b64 exec, s[10:11]
	s_waitcnt lgkmcnt(0)
	s_barrier
	ds_read_b128 v[56:59], v15
	ds_read_b128 v[60:63], v15 offset:576
	ds_read_b128 v[76:79], v15 offset:1152
	;; [unrolled: 1-line block ×6, first 2 shown]
	v_accvgpr_write_b32 a220, v136
	ds_read_b128 v[136:139], v136
	ds_read_b128 v[140:143], v14
	ds_read_b128 v[152:155], v14 offset:576
	ds_read_b128 v[156:159], v14 offset:1152
	;; [unrolled: 1-line block ×6, first 2 shown]
	ds_read_b128 v[204:207], v72
	v_accvgpr_write_b32 a221, v72
	s_waitcnt vmcnt(2)
	v_perm_b32 v46, v26, v30, s49
	v_perm_b32 v72, v26, v30, s50
	s_waitcnt vmcnt(0)
	v_perm_b32 v47, v34, v38, s49
	v_perm_b32 v73, v34, v38, s50
	;; [unrolled: 1-line block ×3, first 2 shown]
	s_waitcnt lgkmcnt(0)
	s_barrier
	v_perm_b32 v30, v27, v31, s50
	v_perm_b32 v27, v35, v39, s49
	;; [unrolled: 1-line block ×11, first 2 shown]
	ds_write2_b64 v98, v[46:47], v[72:73] offset1:2
	ds_write2_b64 v98, v[26:27], v[30:31] offset0:4 offset1:6
	ds_write2_b64 v98, v[34:35], v[38:39] offset0:8 offset1:10
	;; [unrolled: 1-line block ×3, first 2 shown]
	v_accvgpr_read_b32 v26, a226
	v_add_u32_e32 v26, v53, v26
	s_mov_b64 s[10:11], exec
.LBB1_127:                              ;   Parent Loop BB1_44 Depth=1
                                        ; =>  This Inner Loop Header: Depth=2
	v_readfirstlane_b32 s16, v8
	v_readfirstlane_b32 s17, v9
	v_readfirstlane_b32 s18, v238
	v_readfirstlane_b32 s19, v239
	v_cmp_eq_u64_e64 s[6:7], s[16:17], v[8:9]
	v_cmp_eq_u64_e64 s[8:9], s[18:19], v[238:239]
	s_and_b64 s[6:7], s[6:7], s[8:9]
	s_and_saveexec_b64 s[6:7], s[6:7]
	s_nop 0
	buffer_load_dwordx4 v[72:75], v26, s[16:19], 0 offen
                                        ; implicit-def: $vgpr26
	s_xor_b64 exec, exec, s[6:7]
	s_cbranch_execnz .LBB1_127
; %bb.128:                              ;   in Loop: Header=BB1_44 Depth=1
	s_mov_b64 exec, s[10:11]
	v_accvgpr_read_b32 v26, a229
	v_add_u32_e32 v26, v53, v26
	s_mov_b64 s[10:11], exec
.LBB1_129:                              ;   Parent Loop BB1_44 Depth=1
                                        ; =>  This Inner Loop Header: Depth=2
	v_readfirstlane_b32 s16, v8
	v_readfirstlane_b32 s17, v9
	v_readfirstlane_b32 s18, v238
	v_readfirstlane_b32 s19, v239
	v_cmp_eq_u64_e64 s[6:7], s[16:17], v[8:9]
	v_cmp_eq_u64_e64 s[8:9], s[18:19], v[238:239]
	s_and_b64 s[6:7], s[6:7], s[8:9]
	s_and_saveexec_b64 s[6:7], s[6:7]
	s_nop 0
	buffer_load_dwordx4 v[124:127], v26, s[16:19], 0 offen
                                        ; implicit-def: $vgpr26
	s_xor_b64 exec, exec, s[6:7]
	s_cbranch_execnz .LBB1_129
; %bb.130:                              ;   in Loop: Header=BB1_44 Depth=1
	s_mov_b64 exec, s[10:11]
	;; [unrolled: 20-line block ×4, first 2 shown]
	v_accvgpr_read_b32 v26, a198
	v_accvgpr_read_b32 v27, a199
	v_pk_mul_f32 v[40:41], v[26:27], v[6:7] op_sel_hi:[1,0]
	v_accvgpr_read_b32 v26, a222
	v_accvgpr_read_b32 v27, a223
	v_pk_mul_f32 v[38:39], v[26:27], v[6:7] op_sel_hi:[1,0]
	;; [unrolled: 3-line block ×8, first 2 shown]
	v_accvgpr_write_b32 a0, v26
	v_accvgpr_write_b32 a1, v27
	;; [unrolled: 1-line block ×16, first 2 shown]
	buffer_load_dword v26, off, s[0:3], s32 offset:1524 ; 4-byte Folded Reload
	buffer_load_dword v27, off, s[0:3], s32 offset:1528 ; 4-byte Folded Reload
	v_perm_b32 v46, v149, v0, s51
	v_perm_b32 v47, v151, v150, s51
	;; [unrolled: 1-line block ×4, first 2 shown]
	v_mfma_f32_32x32x8bf16_1k a[0:15], a[16:17], v[46:47], a[0:15]
	v_perm_b32 v19, v19, v249, s51
	v_perm_b32 v10, v10, v25, s51
	;; [unrolled: 1-line block ×3, first 2 shown]
	v_add_u32_e32 v52, 0x80, v52
	s_waitcnt vmcnt(0)
	v_pk_mul_f32 v[40:41], v[26:27], v[6:7] op_sel_hi:[1,0]
	v_accvgpr_read_b32 v26, a244
	v_accvgpr_read_b32 v27, a245
	v_pk_mul_f32 v[38:39], v[26:27], v[6:7] op_sel_hi:[1,0]
	v_accvgpr_read_b32 v26, a190
	v_accvgpr_read_b32 v27, a191
	v_pk_mul_f32 v[36:37], v[26:27], v[6:7] op_sel_hi:[1,0]
	v_accvgpr_read_b32 v26, a200
	v_accvgpr_read_b32 v27, a201
	v_pk_mul_f32 v[34:35], v[26:27], v[6:7] op_sel_hi:[1,0]
	v_accvgpr_read_b32 v26, a216
	v_accvgpr_read_b32 v27, a217
	v_pk_mul_f32 v[32:33], v[26:27], v[6:7] op_sel_hi:[1,0]
	v_accvgpr_read_b32 v26, a196
	v_accvgpr_read_b32 v27, a197
	v_pk_mul_f32 v[30:31], v[26:27], v[6:7] op_sel_hi:[1,0]
	v_accvgpr_read_b32 v26, a210
	v_accvgpr_read_b32 v27, a211
	v_pk_mul_f32 v[28:29], v[26:27], v[6:7] op_sel_hi:[1,0]
	v_accvgpr_read_b32 v26, a202
	v_accvgpr_read_b32 v27, a203
	v_pk_mul_f32 v[26:27], v[26:27], v[6:7] op_sel_hi:[1,0]
	v_mfma_f32_32x32x8bf16_1k a[0:15], a[18:19], v[0:1], a[0:15]
	v_accvgpr_write_b32 a16, v26
	v_accvgpr_write_b32 a17, v27
	;; [unrolled: 1-line block ×16, first 2 shown]
	buffer_load_dword v26, off, s[0:3], s32 offset:1508 ; 4-byte Folded Reload
	buffer_load_dword v27, off, s[0:3], s32 offset:1512 ; 4-byte Folded Reload
	v_mfma_f32_32x32x8bf16_1k a[16:31], v[232:233], v[46:47], a[16:31]
	s_waitcnt vmcnt(0)
	v_pk_mul_f32 v[40:41], v[26:27], v[6:7] op_sel_hi:[1,0]
	v_accvgpr_read_b32 v26, a206
	v_accvgpr_read_b32 v27, a207
	v_pk_mul_f32 v[38:39], v[26:27], v[6:7] op_sel_hi:[1,0]
	v_accvgpr_read_b32 v26, a218
	v_accvgpr_read_b32 v27, a219
	;; [unrolled: 3-line block ×6, first 2 shown]
	v_pk_mul_f32 v[28:29], v[26:27], v[6:7] op_sel_hi:[1,0]
	buffer_load_dword v26, off, s[0:3], s32 offset:1516 ; 4-byte Folded Reload
	buffer_load_dword v27, off, s[0:3], s32 offset:1520 ; 4-byte Folded Reload
	v_mfma_f32_32x32x8bf16_1k a[16:31], v[234:235], v[0:1], a[16:31]
	s_waitcnt vmcnt(0)
	v_pk_mul_f32 v[26:27], v[26:27], v[6:7] op_sel_hi:[1,0]
	v_accvgpr_write_b32 a47, v41
	v_accvgpr_write_b32 a46, v40
	;; [unrolled: 1-line block ×16, first 2 shown]
	buffer_load_dword v26, off, s[0:3], s32 offset:1492 ; 4-byte Folded Reload
	buffer_load_dword v27, off, s[0:3], s32 offset:1496 ; 4-byte Folded Reload
	v_mfma_f32_32x32x8bf16_1k a[32:47], v[216:217], v[46:47], a[32:47]
	s_waitcnt vmcnt(0)
	v_pk_mul_f32 v[40:41], v[26:27], v[6:7] op_sel_hi:[1,0]
	v_accvgpr_read_b32 v26, a188
	v_accvgpr_read_b32 v27, a189
	v_pk_mul_f32 v[38:39], v[26:27], v[6:7] op_sel_hi:[1,0]
	v_accvgpr_read_b32 v26, a254
	v_accvgpr_read_b32 v27, a255
	;; [unrolled: 3-line block ×6, first 2 shown]
	v_pk_mul_f32 v[28:29], v[26:27], v[6:7] op_sel_hi:[1,0]
	buffer_load_dword v26, off, s[0:3], s32 offset:1500 ; 4-byte Folded Reload
	buffer_load_dword v27, off, s[0:3], s32 offset:1504 ; 4-byte Folded Reload
	v_mfma_f32_32x32x8bf16_1k a[32:47], v[218:219], v[0:1], a[32:47]
	s_waitcnt vmcnt(0)
	v_pk_mul_f32 v[26:27], v[26:27], v[6:7] op_sel_hi:[1,0]
	v_accvgpr_write_b32 a63, v41
	v_accvgpr_write_b32 a62, v40
	;; [unrolled: 1-line block ×16, first 2 shown]
	buffer_load_dword v26, off, s[0:3], s32 offset:1484 ; 4-byte Folded Reload
	buffer_load_dword v27, off, s[0:3], s32 offset:1488 ; 4-byte Folded Reload
	v_mfma_f32_32x32x8bf16_1k a[48:63], v[120:121], v[46:47], a[48:63]
	s_waitcnt vmcnt(0)
	v_pk_mul_f32 v[40:41], v[26:27], v[6:7] op_sel_hi:[1,0]
	v_accvgpr_read_b32 v26, a76
	v_accvgpr_read_b32 v27, a77
	v_pk_mul_f32 v[38:39], v[26:27], v[6:7] op_sel_hi:[1,0]
	v_accvgpr_read_b32 v26, a74
	v_accvgpr_read_b32 v27, a75
	;; [unrolled: 3-line block ×7, first 2 shown]
	v_pk_mul_f32 v[26:27], v[26:27], v[6:7] op_sel_hi:[1,0]
	v_accvgpr_write_b32 a79, v41
	v_accvgpr_write_b32 a78, v40
	;; [unrolled: 1-line block ×16, first 2 shown]
	buffer_load_dword v26, off, s[0:3], s32 offset:1476 ; 4-byte Folded Reload
	buffer_load_dword v27, off, s[0:3], s32 offset:1480 ; 4-byte Folded Reload
	v_mfma_f32_32x32x8bf16_1k a[64:79], v[42:43], v[46:47], a[64:79]
	s_waitcnt vmcnt(0)
	v_pk_mul_f32 v[40:41], v[26:27], v[6:7] op_sel_hi:[1,0]
	v_accvgpr_read_b32 v26, a92
	v_accvgpr_read_b32 v27, a93
	v_pk_mul_f32 v[38:39], v[26:27], v[6:7] op_sel_hi:[1,0]
	v_accvgpr_read_b32 v26, a90
	v_accvgpr_read_b32 v27, a91
	;; [unrolled: 3-line block ×7, first 2 shown]
	v_pk_mul_f32 v[26:27], v[26:27], v[6:7] op_sel_hi:[1,0]
	v_accvgpr_write_b32 a95, v41
	v_accvgpr_write_b32 a94, v40
	;; [unrolled: 1-line block ×16, first 2 shown]
	buffer_load_dword v26, off, s[0:3], s32 offset:1468 ; 4-byte Folded Reload
	buffer_load_dword v27, off, s[0:3], s32 offset:1472 ; 4-byte Folded Reload
	v_mfma_f32_32x32x8bf16_1k a[80:95], v[244:245], v[46:47], a[80:95]
	v_perm_b32 v245, v2, v80, s51
	v_perm_b32 v244, v67, v71, s51
	s_waitcnt vmcnt(0)
	v_pk_mul_f32 v[40:41], v[26:27], v[6:7] op_sel_hi:[1,0]
	v_accvgpr_read_b32 v26, a108
	v_accvgpr_read_b32 v27, a109
	v_pk_mul_f32 v[38:39], v[26:27], v[6:7] op_sel_hi:[1,0]
	v_accvgpr_read_b32 v26, a106
	v_accvgpr_read_b32 v27, a107
	;; [unrolled: 3-line block ×7, first 2 shown]
	v_pk_mul_f32 v[26:27], v[26:27], v[6:7] op_sel_hi:[1,0]
	v_accvgpr_write_b32 a111, v41
	v_accvgpr_write_b32 a110, v40
	;; [unrolled: 1-line block ×16, first 2 shown]
	buffer_load_dword v26, off, s[0:3], s32 offset:1460 ; 4-byte Folded Reload
	buffer_load_dword v27, off, s[0:3], s32 offset:1464 ; 4-byte Folded Reload
	v_mfma_f32_32x32x8bf16_1k a[96:111], v[240:241], v[46:47], a[96:111]
	s_waitcnt lgkmcnt(0)
	s_barrier
	s_waitcnt vmcnt(0)
	v_pk_mul_f32 v[40:41], v[26:27], v[6:7] op_sel_hi:[1,0]
	v_accvgpr_read_b32 v26, a124
	v_accvgpr_read_b32 v27, a125
	v_pk_mul_f32 v[38:39], v[26:27], v[6:7] op_sel_hi:[1,0]
	v_accvgpr_read_b32 v26, a122
	v_accvgpr_read_b32 v27, a123
	;; [unrolled: 3-line block ×7, first 2 shown]
	v_pk_mul_f32 v[26:27], v[26:27], v[6:7] op_sel_hi:[1,0]
	v_accvgpr_write_b32 a127, v41
	v_accvgpr_write_b32 a126, v40
	;; [unrolled: 1-line block ×16, first 2 shown]
	v_mfma_f32_32x32x8bf16_1k a[48:63], v[122:123], v[0:1], a[48:63]
	v_perm_b32 v26, v135, v134, s51
	v_perm_b32 v27, v145, v144, s51
	;; [unrolled: 1-line block ×8, first 2 shown]
	v_mfma_f32_32x32x8bf16_1k a[112:127], v[164:165], v[46:47], a[112:127]
	v_mfma_f32_32x32x8bf16_1k a[64:79], v[44:45], v[0:1], a[64:79]
	;; [unrolled: 1-line block ×5, first 2 shown]
	v_perm_b32 v0, v131, v130, s51
	v_perm_b32 v1, v133, v132, s51
	s_nop 1
	v_mfma_f32_32x32x8bf16_1k a[0:15], v[176:177], v[0:1], a[0:15]
	v_mfma_f32_32x32x8bf16_1k a[16:31], v[180:181], v[0:1], a[16:31]
	v_mfma_f32_32x32x8bf16_1k a[32:47], v[192:193], v[0:1], a[32:47]
	v_mfma_f32_32x32x8bf16_1k a[48:63], v[196:197], v[0:1], a[48:63]
	v_mfma_f32_32x32x8bf16_1k a[64:79], v[208:209], v[0:1], a[64:79]
	v_mfma_f32_32x32x8bf16_1k a[80:95], v[212:213], v[0:1], a[80:95]
	v_mfma_f32_32x32x8bf16_1k a[96:111], v[224:225], v[0:1], a[96:111]
	v_mfma_f32_32x32x8bf16_1k a[112:127], v[228:229], v[0:1], a[112:127]
	v_perm_b32 v0, v119, v117, s51
	v_perm_b32 v1, v129, v128, s51
	v_mfma_f32_32x32x8bf16_1k a[0:15], v[178:179], v[26:27], a[0:15]
	v_mfma_f32_32x32x8bf16_1k a[16:31], v[182:183], v[26:27], a[16:31]
	v_mfma_f32_32x32x8bf16_1k a[32:47], v[194:195], v[26:27], a[32:47]
	v_mfma_f32_32x32x8bf16_1k a[48:63], v[198:199], v[26:27], a[48:63]
	v_mfma_f32_32x32x8bf16_1k a[64:79], v[210:211], v[26:27], a[64:79]
	v_mfma_f32_32x32x8bf16_1k a[80:95], v[214:215], v[26:27], a[80:95]
	v_mfma_f32_32x32x8bf16_1k a[96:111], v[226:227], v[26:27], a[96:111]
	v_mfma_f32_32x32x8bf16_1k a[112:127], v[230:231], v[26:27], a[112:127]
	v_perm_b32 v26, v115, v114, s51
	v_perm_b32 v27, v118, v116, s51
	;; [unrolled: 10-line block ×3, first 2 shown]
	v_accvgpr_read_b32 v136, a220
	v_mfma_f32_32x32x8bf16_1k a[0:15], v[58:59], v[26:27], a[0:15]
	v_mov_b32_e32 v58, v65
	v_mfma_f32_32x32x8bf16_1k a[16:31], v[62:63], v[26:27], a[16:31]
	v_mfma_f32_32x32x8bf16_1k a[32:47], v[78:79], v[26:27], a[32:47]
	;; [unrolled: 1-line block ×7, first 2 shown]
	v_perm_b32 v26, v103, v102, s51
	v_perm_b32 v27, v113, v112, s51
	v_mfma_f32_32x32x8bf16_1k a[0:15], v[140:141], v[0:1], a[0:15]
	v_mfma_f32_32x32x8bf16_1k a[16:31], v[152:153], v[0:1], a[16:31]
	;; [unrolled: 1-line block ×8, first 2 shown]
	v_perm_b32 v0, v68, v18, s51
	v_perm_b32 v1, v70, v69, s51
	;; [unrolled: 1-line block ×3, first 2 shown]
	v_mfma_f32_32x32x8bf16_1k a[0:15], v[142:143], v[26:27], a[0:15]
	v_mfma_f32_32x32x8bf16_1k a[16:31], v[154:155], v[26:27], a[16:31]
	;; [unrolled: 1-line block ×8, first 2 shown]
	ds_read_b128 v[26:29], v15
	ds_read_b128 v[30:33], v15 offset:576
	s_waitcnt lgkmcnt(1)
	v_mfma_f32_32x32x8bf16_1k a[0:15], v[26:27], v[0:1], a[0:15]
	s_waitcnt lgkmcnt(0)
	v_mfma_f32_32x32x8bf16_1k a[16:31], v[30:31], v[0:1], a[16:31]
	v_mfma_f32_32x32x8bf16_1k a[0:15], v[28:29], v[18:19], a[0:15]
	;; [unrolled: 1-line block ×3, first 2 shown]
	ds_read_b128 v[26:29], v15 offset:1152
	ds_read_b128 v[30:33], v15 offset:1728
	s_waitcnt lgkmcnt(1)
	v_mfma_f32_32x32x8bf16_1k a[32:47], v[26:27], v[0:1], a[32:47]
	s_waitcnt lgkmcnt(0)
	v_mfma_f32_32x32x8bf16_1k a[48:63], v[30:31], v[0:1], a[48:63]
	v_mfma_f32_32x32x8bf16_1k a[32:47], v[28:29], v[18:19], a[32:47]
	;; [unrolled: 1-line block ×3, first 2 shown]
	ds_read_b128 v[26:29], v15 offset:2304
	ds_read_b128 v[30:33], v15 offset:2880
	s_waitcnt lgkmcnt(1)
	v_mfma_f32_32x32x8bf16_1k a[64:79], v[26:27], v[0:1], a[64:79]
	s_waitcnt lgkmcnt(0)
	v_mfma_f32_32x32x8bf16_1k a[80:95], v[30:31], v[0:1], a[80:95]
	v_mfma_f32_32x32x8bf16_1k a[64:79], v[28:29], v[18:19], a[64:79]
	ds_read_b128 v[26:29], v15 offset:3456
	v_mfma_f32_32x32x8bf16_1k a[80:95], v[32:33], v[18:19], a[80:95]
	ds_read_b128 v[30:33], v136
	s_waitcnt lgkmcnt(1)
	v_mfma_f32_32x32x8bf16_1k a[96:111], v[26:27], v[0:1], a[96:111]
	s_waitcnt lgkmcnt(0)
	v_mfma_f32_32x32x8bf16_1k a[112:127], v[30:31], v[0:1], a[112:127]
	v_perm_b32 v0, v250, v3, s51
	v_perm_b32 v1, v24, v251, s51
	v_accvgpr_read_b32 v3, a221
	v_mfma_f32_32x32x8bf16_1k a[96:111], v[28:29], v[18:19], a[96:111]
	v_mfma_f32_32x32x8bf16_1k a[112:127], v[32:33], v[18:19], a[112:127]
	ds_read_b128 v[26:29], v14
	ds_read_b128 v[30:33], v14 offset:576
	v_perm_b32 v18, v72, v124, s49
	v_perm_b32 v19, v184, v220, s49
	s_waitcnt lgkmcnt(1)
	v_mfma_f32_32x32x8bf16_1k a[0:15], v[26:27], v[0:1], a[0:15]
	v_mfma_f32_32x32x8bf16_1k a[0:15], v[28:29], v[10:11], a[0:15]
	s_waitcnt lgkmcnt(0)
	v_mfma_f32_32x32x8bf16_1k a[16:31], v[30:31], v[0:1], a[16:31]
	ds_read_b128 v[24:27], v14 offset:1152
	ds_read_b128 v[28:31], v14 offset:1728
	s_waitcnt lgkmcnt(1)
	v_mfma_f32_32x32x8bf16_1k a[32:47], v[24:25], v[0:1], a[32:47]
	s_waitcnt lgkmcnt(0)
	v_mfma_f32_32x32x8bf16_1k a[48:63], v[28:29], v[0:1], a[48:63]
	v_mfma_f32_32x32x8bf16_1k a[32:47], v[26:27], v[10:11], a[32:47]
	;; [unrolled: 1-line block ×3, first 2 shown]
	ds_read_b128 v[24:27], v14 offset:2304
	ds_read_b128 v[28:31], v14 offset:2880
	s_waitcnt lgkmcnt(1)
	v_mfma_f32_32x32x8bf16_1k a[64:79], v[24:25], v[0:1], a[64:79]
	s_waitcnt lgkmcnt(0)
	v_mfma_f32_32x32x8bf16_1k a[80:95], v[28:29], v[0:1], a[80:95]
	v_mfma_f32_32x32x8bf16_1k a[64:79], v[26:27], v[10:11], a[64:79]
	ds_read_b128 v[24:27], v14 offset:3456
	v_mfma_f32_32x32x8bf16_1k a[80:95], v[30:31], v[10:11], a[80:95]
	ds_read_b128 v[28:31], v3
	s_waitcnt lgkmcnt(0)
	s_barrier
	v_mfma_f32_32x32x8bf16_1k a[96:111], v[24:25], v[0:1], a[96:111]
	v_perm_b32 v24, v73, v125, s49
	v_perm_b32 v25, v185, v221, s49
	v_mfma_f32_32x32x8bf16_1k a[112:127], v[28:29], v[0:1], a[112:127]
	v_perm_b32 v0, v72, v124, s50
	v_perm_b32 v1, v184, v220, s50
	;; [unrolled: 1-line block ×4, first 2 shown]
	v_accvgpr_read_b32 v72, a221
	v_mfma_f32_32x32x8bf16_1k a[16:31], v[32:33], v[10:11], a[16:31]
	v_perm_b32 v32, v74, v126, s50
	v_perm_b32 v33, v186, v222, s50
	v_mfma_f32_32x32x8bf16_1k a[96:111], v[26:27], v[10:11], a[96:111]
	v_perm_b32 v26, v73, v125, s50
	v_perm_b32 v27, v185, v221, s50
	ds_write2_b64 v98, v[18:19], v[0:1] offset1:2
	ds_write2_b64 v98, v[24:25], v[26:27] offset0:4 offset1:6
	ds_write2_b64 v98, v[28:29], v[32:33] offset0:8 offset1:10
	;; [unrolled: 1-line block ×3, first 2 shown]
	s_waitcnt lgkmcnt(0)
	s_barrier
	ds_read_b128 v[24:27], v15
	v_perm_b32 v0, v83, v87, s51
	v_perm_b32 v1, v84, v96, s51
	v_mfma_f32_32x32x8bf16_1k a[112:127], v[30:31], v[10:11], a[112:127]
	ds_read_b128 v[28:31], v15 offset:576
	v_perm_b32 v10, v81, v85, s51
	v_perm_b32 v11, v82, v86, s51
	s_waitcnt lgkmcnt(1)
	v_mfma_f32_32x32x8bf16_1k a[0:15], v[24:25], v[0:1], a[0:15]
	s_waitcnt lgkmcnt(0)
	v_mfma_f32_32x32x8bf16_1k a[16:31], v[28:29], v[0:1], a[16:31]
	v_mfma_f32_32x32x8bf16_1k a[0:15], v[26:27], v[10:11], a[0:15]
	;; [unrolled: 1-line block ×3, first 2 shown]
	ds_read_b128 v[24:27], v15 offset:1152
	ds_read_b128 v[28:31], v15 offset:1728
	s_waitcnt lgkmcnt(1)
	v_mfma_f32_32x32x8bf16_1k a[32:47], v[24:25], v[0:1], a[32:47]
	s_waitcnt lgkmcnt(0)
	v_mfma_f32_32x32x8bf16_1k a[48:63], v[28:29], v[0:1], a[48:63]
	v_mfma_f32_32x32x8bf16_1k a[32:47], v[26:27], v[10:11], a[32:47]
	;; [unrolled: 1-line block ×3, first 2 shown]
	ds_read_b128 v[24:27], v15 offset:2304
	ds_read_b128 v[28:31], v15 offset:2880
	s_waitcnt lgkmcnt(1)
	v_mfma_f32_32x32x8bf16_1k a[64:79], v[24:25], v[0:1], a[64:79]
	s_waitcnt lgkmcnt(0)
	v_mfma_f32_32x32x8bf16_1k a[80:95], v[28:29], v[0:1], a[80:95]
	v_mfma_f32_32x32x8bf16_1k a[64:79], v[26:27], v[10:11], a[64:79]
	;; [unrolled: 1-line block ×3, first 2 shown]
	ds_read_b128 v[24:27], v15 offset:3456
	ds_read_b128 v[28:31], v136
	s_waitcnt lgkmcnt(1)
	v_mfma_f32_32x32x8bf16_1k a[96:111], v[24:25], v[0:1], a[96:111]
	s_waitcnt lgkmcnt(0)
	v_mfma_f32_32x32x8bf16_1k a[112:127], v[28:29], v[0:1], a[112:127]
	ds_read_b128 v[0:3], v14 offset:576
	s_waitcnt lgkmcnt(0)
	v_mfma_f32_32x32x8bf16_1k a[16:31], v[0:1], v[244:245], a[16:31]
	v_mfma_f32_32x32x8bf16_1k a[96:111], v[26:27], v[10:11], a[96:111]
	ds_read_b128 v[24:27], v14
	v_mfma_f32_32x32x8bf16_1k a[16:31], v[2:3], v[40:41], a[16:31]
	ds_read_b128 v[0:3], v14 offset:1152
	ds_read_b128 v[18:21], v14 offset:1728
	;; [unrolled: 1-line block ×3, first 2 shown]
	ds_read_b128 v[80:83], v72
	s_waitcnt lgkmcnt(1)
	v_mfma_f32_32x32x8bf16_1k a[80:95], v[66:67], v[244:245], a[80:95]
	s_nop 7
	s_nop 4
	v_accvgpr_read_b32 v33, a25
	v_accvgpr_read_b32 v32, a24
	;; [unrolled: 1-line block ×10, first 2 shown]
	v_mfma_f32_32x32x8bf16_1k a[112:127], v[30:31], v[10:11], a[112:127]
	ds_read_b128 v[28:31], v14 offset:2304
	v_mfma_f32_32x32x8bf16_1k a[80:95], v[68:69], v[40:41], a[80:95]
	ds_read_b128 v[66:69], v14 offset:3456
	s_waitcnt lgkmcnt(0)
	s_barrier
	v_mfma_f32_32x32x8bf16_1k a[0:15], v[24:25], v[244:245], a[0:15]
	v_accvgpr_read_b32 v25, a29
	v_accvgpr_read_b32 v24, a28
	s_nop 7
	s_nop 4
	v_accvgpr_read_b32 v171, a95
	v_accvgpr_read_b32 v170, a94
	;; [unrolled: 1-line block ×12, first 2 shown]
	v_mfma_f32_32x32x8bf16_1k a[32:47], v[0:1], v[244:245], a[32:47]
	v_accvgpr_read_b32 v207, a83
	v_accvgpr_read_b32 v206, a82
	;; [unrolled: 1-line block ×4, first 2 shown]
	v_mfma_f32_32x32x8bf16_1k a[48:63], v[18:19], v[244:245], a[48:63]
	v_mfma_f32_32x32x8bf16_1k a[64:79], v[28:29], v[244:245], a[64:79]
	;; [unrolled: 1-line block ×3, first 2 shown]
	v_accvgpr_read_b32 v67, a225
	v_add_u32_e32 v67, v67, v55
	v_accvgpr_write_b32 a225, v67
	v_accvgpr_read_b32 v67, a226
	v_add_u32_e32 v67, v67, v55
	v_accvgpr_write_b32 a226, v67
	;; [unrolled: 3-line block ×5, first 2 shown]
	v_mfma_f32_32x32x8bf16_1k a[112:127], v[80:81], v[244:245], a[112:127]
	v_accvgpr_read_b32 v67, a230
	v_add_u32_e32 v67, v67, v55
	v_accvgpr_write_b32 a230, v67
	v_accvgpr_read_b32 v67, a231
	v_add_u32_e32 v67, v67, v55
	v_accvgpr_write_b32 a231, v67
	;; [unrolled: 3-line block ×5, first 2 shown]
	v_mfma_f32_32x32x8bf16_1k a[0:15], v[26:27], v[40:41], a[0:15]
	v_accvgpr_read_b32 v67, a235
	v_add_u32_e32 v67, v67, v55
	v_accvgpr_write_b32 a235, v67
	v_accvgpr_read_b32 v67, a236
	v_add_u32_e32 v67, v67, v55
	v_accvgpr_write_b32 a236, v67
	;; [unrolled: 3-line block ×4, first 2 shown]
	v_accvgpr_read_b32 v67, a239
	v_accvgpr_read_b32 v66, a205
	v_add_u32_e32 v67, v67, v55
	v_mfma_f32_32x32x8bf16_1k a[32:47], v[2:3], v[40:41], a[32:47]
	v_add_u32_e32 v66, -1, v66
	v_accvgpr_write_b32 a239, v67
	v_accvgpr_read_b32 v67, a240
	v_add_u32_e32 v67, v67, v55
	v_cmp_eq_u32_e64 s[6:7], 0, v66
	v_accvgpr_read_b32 v1, a15
	v_accvgpr_read_b32 v0, a14
	v_accvgpr_read_b32 v3, a13
	v_accvgpr_read_b32 v2, a12
	v_accvgpr_read_b32 v7, a11
	v_accvgpr_read_b32 v6, a10
	v_accvgpr_read_b32 v11, a9
	v_accvgpr_read_b32 v10, a8
	v_accvgpr_read_b32 v19, a7
	v_accvgpr_read_b32 v18, a6
	v_mfma_f32_32x32x8bf16_1k a[48:63], v[20:21], v[40:41], a[48:63]
	v_accvgpr_read_b32 v29, a5
	v_accvgpr_read_b32 v28, a4
	v_accvgpr_read_b32 v35, a3
	v_accvgpr_read_b32 v34, a2
	v_accvgpr_read_b32 v39, a1
	v_accvgpr_read_b32 v38, a0
	v_accvgpr_read_b32 v21, a31
	v_accvgpr_read_b32 v20, a30
	v_accvgpr_read_b32 v27, a27
	v_accvgpr_read_b32 v26, a26
	v_accvgpr_read_b32 v37, a45
	v_accvgpr_read_b32 v36, a44
	v_accvgpr_read_b32 v167, a43
	v_accvgpr_read_b32 v166, a42
	v_accvgpr_read_b32 v179, a41
	v_mfma_f32_32x32x8bf16_1k a[64:79], v[30:31], v[40:41], a[64:79]
	v_accvgpr_read_b32 v31, a47
	v_accvgpr_read_b32 v30, a46
	v_accvgpr_read_b32 v178, a40
	v_accvgpr_read_b32 v197, a39
	v_accvgpr_read_b32 v196, a38
	;; [unrolled: 16-line block ×4, first 2 shown]
	v_accvgpr_read_b32 v175, a71
	v_accvgpr_read_b32 v174, a70
	;; [unrolled: 1-line block ×40, first 2 shown]
	v_accvgpr_write_b32 a240, v67
	v_accvgpr_write_b32 a205, v66
	s_or_b64 s[22:23], s[6:7], s[22:23]
	v_accvgpr_read_b32 v67, a204
	v_accvgpr_read_b32 v66, a204
	s_andn2_b64 exec, exec, s[22:23]
	s_cbranch_execnz .LBB1_44
; %bb.135:
	s_or_b64 exec, exec, s[22:23]
	v_cmp_eq_f32_e64 s[6:7], 0, v65
	v_cmp_neq_f32_e32 vcc, 0, v65
	v_mov_b32_e32 v4, 0xff800000
	s_and_saveexec_b64 s[8:9], vcc
	s_cbranch_execz .LBB1_137
; %bb.136:
	s_mov_b32 s10, 0x652b82fe
	v_cvt_f64_f32_e32 v[4:5], v67
	s_mov_b32 s11, 0x3ff71547
	v_div_scale_f64 v[8:9], s[16:17], s[10:11], s[10:11], v[4:5]
	v_rcp_f64_e32 v[12:13], v[8:9]
	v_fma_f64 v[14:15], -v[8:9], v[12:13], 1.0
	v_fmac_f64_e32 v[12:13], v[12:13], v[14:15]
	v_fma_f64 v[14:15], -v[8:9], v[12:13], 1.0
	v_fmac_f64_e32 v[12:13], v[12:13], v[14:15]
	v_div_scale_f64 v[14:15], vcc, v[4:5], s[10:11], v[4:5]
	v_mul_f64 v[16:17], v[14:15], v[12:13]
	v_fma_f64 v[8:9], -v[8:9], v[16:17], v[14:15]
	v_log_f32_e32 v14, v65
	s_nop 0
	v_div_fmas_f64 v[8:9], v[8:9], v[12:13], v[16:17]
	v_div_fixup_f64 v[4:5], v[8:9], s[10:11], v[4:5]
	s_mov_b32 s10, 0x3f317217
	v_mul_f32_e32 v8, 0x3f317217, v14
	v_fma_f32 v8, v14, s10, -v8
	v_fmac_f32_e32 v8, 0x3377d1cf, v14
	s_mov_b32 s10, 0x7f800000
	v_mac_f32_e32 v8, 0x3f317217, v14
	v_cmp_lt_f32_e64 vcc, |v14|, s10
	v_cndmask_b32_e32 v8, v14, v8, vcc
	v_cvt_f64_f32_e32 v[8:9], v8
	v_add_f64 v[4:5], v[4:5], v[8:9]
	v_cvt_f32_f64_e32 v4, v[4:5]
.LBB1_137:
	s_or_b64 exec, exec, s[8:9]
	buffer_load_dword v12, off, s[0:3], s32 offset:1644 ; 4-byte Folded Reload
	buffer_load_dword v13, off, s[0:3], s32 offset:1648 ; 4-byte Folded Reload
	;; [unrolled: 1-line block ×9, first 2 shown]
	v_accvgpr_read_b32 v55, a241
	v_readfirstlane_b32 s8, v55
	s_waitcnt vmcnt(5)
	v_mov_b32_e32 v15, 0x20000
	s_mov_b64 s[10:11], exec
	s_waitcnt vmcnt(4)
	v_lshlrev_b32_e32 v14, 2, v8
	s_waitcnt vmcnt(2)
	v_lshlrev_b32_e32 v5, 2, v5
	v_lshl_add_u32 v5, s8, 7, v5
.LBB1_138:                              ; =>This Inner Loop Header: Depth=1
	v_readfirstlane_b32 s16, v12
	v_readfirstlane_b32 s17, v13
	;; [unrolled: 1-line block ×4, first 2 shown]
	v_cmp_eq_u64_e32 vcc, s[16:17], v[12:13]
	v_cmp_eq_u64_e64 s[8:9], s[18:19], v[14:15]
	s_and_b64 s[8:9], vcc, s[8:9]
	s_and_saveexec_b64 s[8:9], s[8:9]
	s_nop 0
	buffer_store_dword v4, v5, s[16:19], 0 offen
                                        ; implicit-def: $vgpr12_vgpr13_vgpr14_vgpr15
                                        ; implicit-def: $vgpr4
                                        ; implicit-def: $vgpr5
	s_xor_b64 exec, exec, s[8:9]
	s_cbranch_execnz .LBB1_138
; %bb.139:
	s_mov_b64 exec, s[10:11]
	v_div_scale_f32 v4, s[8:9], v65, v65, 1.0
	v_rcp_f32_e32 v5, v4
	v_div_scale_f32 v8, vcc, 1.0, v65, 1.0
	s_setreg_imm32_b32 hwreg(HW_REG_MODE, 4, 2), 3
	v_fma_f32 v9, -v4, v5, 1.0
	v_fmac_f32_e32 v5, v9, v5
	v_mul_f32_e32 v9, v8, v5
	v_fma_f32 v12, -v4, v9, v8
	v_fmac_f32_e32 v9, v12, v5
	v_fma_f32 v4, -v4, v9, v8
	s_setreg_imm32_b32 hwreg(HW_REG_MODE, 4, 2), 0
	v_div_fmas_f32 v4, v4, v5, v9
	v_div_fixup_f32 v4, v4, v65, 1.0
	v_cndmask_b32_e64 v4, v4, 0, s[6:7]
	v_pk_mul_f32 v[152:153], v[4:5], v[38:39] op_sel_hi:[0,1]
	v_pk_mul_f32 v[154:155], v[4:5], v[34:35] op_sel_hi:[0,1]
	;; [unrolled: 1-line block ×64, first 2 shown]
                                        ; implicit-def: $vgpr2
                                        ; implicit-def: $vgpr0
                                        ; implicit-def: $vgpr16
                                        ; implicit-def: $vgpr50
	buffer_store_dword v2, off, s[0:3], s32 offset:1644 ; 4-byte Folded Spill
	s_nop 0
	buffer_store_dword v3, off, s[0:3], s32 offset:1648 ; 4-byte Folded Spill
	buffer_store_dword v4, off, s[0:3], s32 offset:1652 ; 4-byte Folded Spill
	;; [unrolled: 1-line block ×3, first 2 shown]
.LBB1_140:
	s_andn2_saveexec_b64 s[6:7], s[20:21]
	s_cbranch_execz .LBB1_144
; %bb.141:
	v_mul_f32_e32 v1, v16, v50
	v_mov_b32_e32 v2, 0xff800000
	v_cndmask_b32_e64 v1, v2, v1, s[4:5]
	buffer_load_dword v4, off, s[0:3], s32 offset:1644 ; 4-byte Folded Reload
	buffer_load_dword v5, off, s[0:3], s32 offset:1648 ; 4-byte Folded Reload
	buffer_load_dword v6, off, s[0:3], s32 offset:1652 ; 4-byte Folded Reload
	buffer_load_dword v7, off, s[0:3], s32 offset:1656 ; 4-byte Folded Reload
	buffer_load_dword v2, off, s[0:3], s32 offset:1532 ; 4-byte Folded Reload
	buffer_load_dword v3, off, s[0:3], s32 offset:1536 ; 4-byte Folded Reload
	v_readfirstlane_b32 s4, v55
	s_waitcnt vmcnt(2)
	v_mov_b32_e32 v7, 0x20000
	s_mov_b64 s[16:17], exec
	s_waitcnt vmcnt(1)
	v_lshlrev_b32_e32 v6, 2, v2
	buffer_load_dword v2, off, s[0:3], s32 offset:1452 ; 4-byte Folded Reload
	s_waitcnt vmcnt(0)
	v_lshlrev_b32_e32 v2, 2, v2
	v_lshl_add_u32 v2, s4, 7, v2
.LBB1_142:                              ; =>This Inner Loop Header: Depth=1
	v_readfirstlane_b32 s8, v4
	v_readfirstlane_b32 s9, v5
	;; [unrolled: 1-line block ×4, first 2 shown]
	v_cmp_eq_u64_e32 vcc, s[8:9], v[4:5]
	v_cmp_eq_u64_e64 s[4:5], s[10:11], v[6:7]
	s_and_b64 s[4:5], vcc, s[4:5]
	s_and_saveexec_b64 s[4:5], s[4:5]
	s_nop 0
	buffer_store_dword v1, v2, s[8:11], 0 offen
                                        ; implicit-def: $vgpr4_vgpr5_vgpr6_vgpr7
                                        ; implicit-def: $vgpr1
                                        ; implicit-def: $vgpr2
	s_xor_b64 exec, exec, s[4:5]
	s_cbranch_execnz .LBB1_142
; %bb.143:
	s_mov_b64 exec, s[16:17]
	v_lshrrev_b32_e32 v17, 3, v0
	v_mov_b32_e32 v152, 0
	v_mov_b32_e32 v153, 0
	;; [unrolled: 1-line block ×128, first 2 shown]
.LBB1_144:
	s_or_b64 exec, exec, s[6:7]
	buffer_load_dword v0, off, s[0:3], s32 offset:1532 ; 4-byte Folded Reload
	buffer_load_dword v1, off, s[0:3], s32 offset:1536 ; 4-byte Folded Reload
	;; [unrolled: 1-line block ×4, first 2 shown]
	s_mov_b64 s[6:7], exec
	s_waitcnt vmcnt(3)
	v_add_u32_e32 v0, -1, v0
	s_waitcnt vmcnt(1)
	v_mul_lo_u32 v2, v13, v0
	buffer_load_dword v0, off, s[0:3], s32 offset:1664 ; 4-byte Folded Reload
	v_add_lshl_u32 v2, v2, v54, 1
	s_waitcnt vmcnt(0)
	v_mad_i64_i32 v[0:1], s[4:5], v0, s12, 0
	v_lshlrev_b64 v[0:1], 1, v[0:1]
	v_add_co_u32_e32 v3, vcc, v3, v0
	buffer_load_dword v0, off, s[0:3], s32 offset:1668 ; 4-byte Folded Reload
	s_waitcnt vmcnt(0)
	v_addc_co_u32_e32 v4, vcc, v0, v1, vcc
	buffer_load_dword v0, off, s[0:3], s32 offset:1676 ; 4-byte Folded Reload
	s_waitcnt vmcnt(0)
	v_mad_i64_i32 v[0:1], s[4:5], v0, s14, 0
	v_lshlrev_b64 v[0:1], 1, v[0:1]
	v_add_co_u32_e32 v0, vcc, v3, v0
	v_addc_co_u32_e32 v1, vcc, v4, v1, vcc
	v_mov_b32_e32 v3, 0x7fff
	v_mov_b32_e32 v4, 0x7fff0000
	;;#ASMSTART
	
             v_cmp_u_f32 s[4:5], v152, v152 
             v_bfe_u32 v5, v152, 16, 1 
             v_add3_u32 v5, v152, v5, v3 
             v_cndmask_b32 v152, v5, v4, s[4:5] 
             v_lshrrev_b32 v152, 16, v152 
             
	;;#ASMEND
	;;#ASMSTART
	
             v_cmp_u_f32 s[4:5], v153, v153 
             v_bfe_u32 v5, v153, 16, 1 
             v_add3_u32 v5, v153, v5, v3 
             v_cndmask_b32 v153, v5, v4, s[4:5] 
             v_lshrrev_b32 v153, 16, v153 
             
	;;#ASMEND
	;; [unrolled: 9-line block ×128, first 2 shown]
	buffer_load_dword v4, off, s[0:3], s32 offset:1452 ; 4-byte Folded Reload
	v_readfirstlane_b32 s4, v55
	v_and_b32_e32 v3, 0x1ffffffc, v17
	v_add_u32_e32 v12, s26, v3
	v_and_b32_e32 v3, 0xffff, v154
	v_lshl_or_b32 v5, v155, 16, v3
	v_mov_b32_e32 v3, 0x20000
	s_waitcnt vmcnt(0)
	v_lshl_add_u32 v4, s4, 5, v4
	v_mul_lo_u32 v13, v4, v13
	v_and_b32_e32 v4, 0xffff, v152
	v_lshl_or_b32 v4, v153, 16, v4
	v_add_lshl_u32 v12, v12, v13, 1
.LBB1_145:                              ; =>This Inner Loop Header: Depth=1
	v_readfirstlane_b32 s8, v0
	v_readfirstlane_b32 s9, v1
	;; [unrolled: 1-line block ×4, first 2 shown]
	v_cmp_eq_u64_e32 vcc, s[8:9], v[0:1]
	v_cmp_eq_u64_e64 s[4:5], s[10:11], v[2:3]
	s_and_b64 s[4:5], vcc, s[4:5]
	s_and_saveexec_b64 s[4:5], s[4:5]
	s_nop 0
	buffer_store_dwordx2 v[4:5], v12, s[8:11], 0 offen
                                        ; implicit-def: $vgpr4_vgpr5
	s_xor_b64 exec, exec, s[4:5]
	s_cbranch_execnz .LBB1_145
; %bb.146:
	s_mov_b64 exec, s[6:7]
	v_and_b32_e32 v5, 0xffff, v142
	v_and_b32_e32 v4, 0xffff, v140
	v_lshl_or_b32 v4, v141, 16, v4
	v_lshl_or_b32 v5, v143, 16, v5
	s_mov_b64 s[6:7], exec
.LBB1_147:                              ; =>This Inner Loop Header: Depth=1
	v_readfirstlane_b32 s8, v0
	v_readfirstlane_b32 s9, v1
	v_readfirstlane_b32 s10, v2
	v_readfirstlane_b32 s11, v3
	v_cmp_eq_u64_e32 vcc, s[8:9], v[0:1]
	v_cmp_eq_u64_e64 s[4:5], s[10:11], v[2:3]
	s_and_b64 s[4:5], vcc, s[4:5]
	s_and_saveexec_b64 s[4:5], s[4:5]
	s_nop 0
	buffer_store_dwordx2 v[4:5], v12, s[8:11], 0 offen offset:16
                                        ; implicit-def: $vgpr4_vgpr5
	s_xor_b64 exec, exec, s[4:5]
	s_cbranch_execnz .LBB1_147
; %bb.148:
	s_mov_b64 exec, s[6:7]
	v_and_b32_e32 v5, 0xffff, v138
	v_and_b32_e32 v4, 0xffff, v136
	v_lshl_or_b32 v4, v137, 16, v4
	v_lshl_or_b32 v5, v139, 16, v5
	s_mov_b64 s[6:7], exec
.LBB1_149:                              ; =>This Inner Loop Header: Depth=1
	v_readfirstlane_b32 s8, v0
	v_readfirstlane_b32 s9, v1
	v_readfirstlane_b32 s10, v2
	v_readfirstlane_b32 s11, v3
	v_cmp_eq_u64_e32 vcc, s[8:9], v[0:1]
	v_cmp_eq_u64_e64 s[4:5], s[10:11], v[2:3]
	s_and_b64 s[4:5], vcc, s[4:5]
	s_and_saveexec_b64 s[4:5], s[4:5]
	s_nop 0
	buffer_store_dwordx2 v[4:5], v12, s[8:11], 0 offen offset:32
                                        ; implicit-def: $vgpr4_vgpr5
	s_xor_b64 exec, exec, s[4:5]
	s_cbranch_execnz .LBB1_149
	;; [unrolled: 21-line block ×30, first 2 shown]
; %bb.206:
	s_mov_b64 exec, s[6:7]
	v_and_b32_e32 v5, 0xffff, v246
	v_and_b32_e32 v4, 0xffff, v244
	v_lshl_or_b32 v4, v245, 16, v4
	v_lshl_or_b32 v5, v247, 16, v5
	s_mov_b64 s[6:7], exec
.LBB1_207:                              ; =>This Inner Loop Header: Depth=1
	v_readfirstlane_b32 s8, v0
	v_readfirstlane_b32 s9, v1
	;; [unrolled: 1-line block ×4, first 2 shown]
	v_cmp_eq_u64_e32 vcc, s[8:9], v[0:1]
	v_cmp_eq_u64_e64 s[4:5], s[10:11], v[2:3]
	s_and_b64 s[4:5], vcc, s[4:5]
	s_and_saveexec_b64 s[4:5], s[4:5]
	s_nop 0
	buffer_store_dwordx2 v[4:5], v12, s[8:11], 0 offen offset:496
                                        ; implicit-def: $vgpr0_vgpr1_vgpr2_vgpr3
                                        ; implicit-def: $vgpr4_vgpr5
                                        ; implicit-def: $vgpr12
	s_xor_b64 exec, exec, s[4:5]
	s_cbranch_execnz .LBB1_207
; %bb.208:
	s_mov_b64 exec, s[6:7]
	buffer_load_dword a255, off, s[0:3], s32 offset:108 ; 4-byte Folded Reload
	buffer_load_dword a254, off, s[0:3], s32 offset:112 ; 4-byte Folded Reload
	;; [unrolled: 1-line block ×335, first 2 shown]
	v_readlane_b32 s30, v255, 19
	v_readlane_b32 s31, v255, 20
	;; [unrolled: 1-line block ×21, first 2 shown]
	s_or_saveexec_b64 s[4:5], -1
	buffer_load_dword v255, off, s[0:3], s32 offset:1688 ; 4-byte Folded Reload
	s_mov_b64 exec, s[4:5]
	s_waitcnt vmcnt(0)
	s_setpc_b64 s[30:31]
.Lfunc_end1:
	.size	_ZNK7ck_tile13FmhaFwdKernelINS_23BlockFmhaPipelineQRKSVSINS_24BlockFmhaPipelineProblemItttffthftftNS_13TileFmhaShapeINS_8sequenceIJLi128ELi128ELi32ELi256ELi32ELi256EEEENS4_IJLi4ELi1ELi1EEEENS4_IJLi32ELi32ELi16EEEES6_S7_Lb1EEELb0ENS_17ComposedAttentionILj4ELb1EEENS_30SimplifiedGenericAttentionMaskILb1EEELb0ENS_14TileFmhaTraitsILb0ELb0ELb0ELb0ELb1ELNS_22BlockAttentionBiasEnumE0ELb0ELb1ELb1ELNS_28BlockAttentionQuantScaleEnumE0ELin1ELb0ELb0EEEEENS_35BlockFmhaPipelineQXKSVSCustomPolicyILb1ELb0ELi1ELi1EEEEENS_17Default2DEpilogueINS_24Default2DEpilogueProblemIftLb0ELb0ELb1EEEvEEE4run_ENSP_21FmhaFwdBatchModeKargsE, .Lfunc_end1-_ZNK7ck_tile13FmhaFwdKernelINS_23BlockFmhaPipelineQRKSVSINS_24BlockFmhaPipelineProblemItttffthftftNS_13TileFmhaShapeINS_8sequenceIJLi128ELi128ELi32ELi256ELi32ELi256EEEENS4_IJLi4ELi1ELi1EEEENS4_IJLi32ELi32ELi16EEEES6_S7_Lb1EEELb0ENS_17ComposedAttentionILj4ELb1EEENS_30SimplifiedGenericAttentionMaskILb1EEELb0ENS_14TileFmhaTraitsILb0ELb0ELb0ELb0ELb1ELNS_22BlockAttentionBiasEnumE0ELb0ELb1ELb1ELNS_28BlockAttentionQuantScaleEnumE0ELin1ELb0ELb0EEEEENS_35BlockFmhaPipelineQXKSVSCustomPolicyILb1ELb0ELi1ELi1EEEEENS_17Default2DEpilogueINS_24Default2DEpilogueProblemIftLb0ELb0ELb1EEEvEEE4run_ENSP_21FmhaFwdBatchModeKargsE
                                        ; -- End function
	.section	.AMDGPU.csdata,"",@progbits
; Function info:
; codeLenInByte = 46844
; NumSgprs: 57
; NumVgprs: 256
; NumAgprs: 256
; TotalNumVgprs: 512
; ScratchSize: 1696
; MemoryBound: 0
	.section	.text._ZN7ck_tile6kentryINS_6gfx9_tELi1ENS_13FmhaFwdKernelINS_23BlockFmhaPipelineQRKSVSINS_24BlockFmhaPipelineProblemItttffthftftNS_13TileFmhaShapeINS_8sequenceIJLi128ELi128ELi32ELi256ELi32ELi256EEEENS6_IJLi4ELi1ELi1EEEENS6_IJLi32ELi32ELi16EEEES8_S9_Lb1EEELb0ENS_17ComposedAttentionILj4ELb1EEENS_30SimplifiedGenericAttentionMaskILb1EEELb0ENS_14TileFmhaTraitsILb0ELb0ELb0ELb0ELb1ELNS_22BlockAttentionBiasEnumE0ELb0ELb1ELb1ELNS_28BlockAttentionQuantScaleEnumE0ELin1ELb0ELb0EEEEENS_35BlockFmhaPipelineQXKSVSCustomPolicyILb1ELb0ELi1ELi1EEEEENS_17Default2DEpilogueINS_24Default2DEpilogueProblemIftLb0ELb0ELb1EEEvEEEEJNSR_21FmhaFwdBatchModeKargsEEEENSt9enable_ifIXnt26kattr_no_packed_fp32_ops_vIT_EEvE4typeEDpT2_,"axG",@progbits,_ZN7ck_tile6kentryINS_6gfx9_tELi1ENS_13FmhaFwdKernelINS_23BlockFmhaPipelineQRKSVSINS_24BlockFmhaPipelineProblemItttffthftftNS_13TileFmhaShapeINS_8sequenceIJLi128ELi128ELi32ELi256ELi32ELi256EEEENS6_IJLi4ELi1ELi1EEEENS6_IJLi32ELi32ELi16EEEES8_S9_Lb1EEELb0ENS_17ComposedAttentionILj4ELb1EEENS_30SimplifiedGenericAttentionMaskILb1EEELb0ENS_14TileFmhaTraitsILb0ELb0ELb0ELb0ELb1ELNS_22BlockAttentionBiasEnumE0ELb0ELb1ELb1ELNS_28BlockAttentionQuantScaleEnumE0ELin1ELb0ELb0EEEEENS_35BlockFmhaPipelineQXKSVSCustomPolicyILb1ELb0ELi1ELi1EEEEENS_17Default2DEpilogueINS_24Default2DEpilogueProblemIftLb0ELb0ELb1EEEvEEEEJNSR_21FmhaFwdBatchModeKargsEEEENSt9enable_ifIXnt26kattr_no_packed_fp32_ops_vIT_EEvE4typeEDpT2_,comdat
	.protected	_ZN7ck_tile6kentryINS_6gfx9_tELi1ENS_13FmhaFwdKernelINS_23BlockFmhaPipelineQRKSVSINS_24BlockFmhaPipelineProblemItttffthftftNS_13TileFmhaShapeINS_8sequenceIJLi128ELi128ELi32ELi256ELi32ELi256EEEENS6_IJLi4ELi1ELi1EEEENS6_IJLi32ELi32ELi16EEEES8_S9_Lb1EEELb0ENS_17ComposedAttentionILj4ELb1EEENS_30SimplifiedGenericAttentionMaskILb1EEELb0ENS_14TileFmhaTraitsILb0ELb0ELb0ELb0ELb1ELNS_22BlockAttentionBiasEnumE0ELb0ELb1ELb1ELNS_28BlockAttentionQuantScaleEnumE0ELin1ELb0ELb0EEEEENS_35BlockFmhaPipelineQXKSVSCustomPolicyILb1ELb0ELi1ELi1EEEEENS_17Default2DEpilogueINS_24Default2DEpilogueProblemIftLb0ELb0ELb1EEEvEEEEJNSR_21FmhaFwdBatchModeKargsEEEENSt9enable_ifIXnt26kattr_no_packed_fp32_ops_vIT_EEvE4typeEDpT2_ ; -- Begin function _ZN7ck_tile6kentryINS_6gfx9_tELi1ENS_13FmhaFwdKernelINS_23BlockFmhaPipelineQRKSVSINS_24BlockFmhaPipelineProblemItttffthftftNS_13TileFmhaShapeINS_8sequenceIJLi128ELi128ELi32ELi256ELi32ELi256EEEENS6_IJLi4ELi1ELi1EEEENS6_IJLi32ELi32ELi16EEEES8_S9_Lb1EEELb0ENS_17ComposedAttentionILj4ELb1EEENS_30SimplifiedGenericAttentionMaskILb1EEELb0ENS_14TileFmhaTraitsILb0ELb0ELb0ELb0ELb1ELNS_22BlockAttentionBiasEnumE0ELb0ELb1ELb1ELNS_28BlockAttentionQuantScaleEnumE0ELin1ELb0ELb0EEEEENS_35BlockFmhaPipelineQXKSVSCustomPolicyILb1ELb0ELi1ELi1EEEEENS_17Default2DEpilogueINS_24Default2DEpilogueProblemIftLb0ELb0ELb1EEEvEEEEJNSR_21FmhaFwdBatchModeKargsEEEENSt9enable_ifIXnt26kattr_no_packed_fp32_ops_vIT_EEvE4typeEDpT2_
	.globl	_ZN7ck_tile6kentryINS_6gfx9_tELi1ENS_13FmhaFwdKernelINS_23BlockFmhaPipelineQRKSVSINS_24BlockFmhaPipelineProblemItttffthftftNS_13TileFmhaShapeINS_8sequenceIJLi128ELi128ELi32ELi256ELi32ELi256EEEENS6_IJLi4ELi1ELi1EEEENS6_IJLi32ELi32ELi16EEEES8_S9_Lb1EEELb0ENS_17ComposedAttentionILj4ELb1EEENS_30SimplifiedGenericAttentionMaskILb1EEELb0ENS_14TileFmhaTraitsILb0ELb0ELb0ELb0ELb1ELNS_22BlockAttentionBiasEnumE0ELb0ELb1ELb1ELNS_28BlockAttentionQuantScaleEnumE0ELin1ELb0ELb0EEEEENS_35BlockFmhaPipelineQXKSVSCustomPolicyILb1ELb0ELi1ELi1EEEEENS_17Default2DEpilogueINS_24Default2DEpilogueProblemIftLb0ELb0ELb1EEEvEEEEJNSR_21FmhaFwdBatchModeKargsEEEENSt9enable_ifIXnt26kattr_no_packed_fp32_ops_vIT_EEvE4typeEDpT2_
	.p2align	8
	.type	_ZN7ck_tile6kentryINS_6gfx9_tELi1ENS_13FmhaFwdKernelINS_23BlockFmhaPipelineQRKSVSINS_24BlockFmhaPipelineProblemItttffthftftNS_13TileFmhaShapeINS_8sequenceIJLi128ELi128ELi32ELi256ELi32ELi256EEEENS6_IJLi4ELi1ELi1EEEENS6_IJLi32ELi32ELi16EEEES8_S9_Lb1EEELb0ENS_17ComposedAttentionILj4ELb1EEENS_30SimplifiedGenericAttentionMaskILb1EEELb0ENS_14TileFmhaTraitsILb0ELb0ELb0ELb0ELb1ELNS_22BlockAttentionBiasEnumE0ELb0ELb1ELb1ELNS_28BlockAttentionQuantScaleEnumE0ELin1ELb0ELb0EEEEENS_35BlockFmhaPipelineQXKSVSCustomPolicyILb1ELb0ELi1ELi1EEEEENS_17Default2DEpilogueINS_24Default2DEpilogueProblemIftLb0ELb0ELb1EEEvEEEEJNSR_21FmhaFwdBatchModeKargsEEEENSt9enable_ifIXnt26kattr_no_packed_fp32_ops_vIT_EEvE4typeEDpT2_,@function
_ZN7ck_tile6kentryINS_6gfx9_tELi1ENS_13FmhaFwdKernelINS_23BlockFmhaPipelineQRKSVSINS_24BlockFmhaPipelineProblemItttffthftftNS_13TileFmhaShapeINS_8sequenceIJLi128ELi128ELi32ELi256ELi32ELi256EEEENS6_IJLi4ELi1ELi1EEEENS6_IJLi32ELi32ELi16EEEES8_S9_Lb1EEELb0ENS_17ComposedAttentionILj4ELb1EEENS_30SimplifiedGenericAttentionMaskILb1EEELb0ENS_14TileFmhaTraitsILb0ELb0ELb0ELb0ELb1ELNS_22BlockAttentionBiasEnumE0ELb0ELb1ELb1ELNS_28BlockAttentionQuantScaleEnumE0ELin1ELb0ELb0EEEEENS_35BlockFmhaPipelineQXKSVSCustomPolicyILb1ELb0ELi1ELi1EEEEENS_17Default2DEpilogueINS_24Default2DEpilogueProblemIftLb0ELb0ELb1EEEvEEEEJNSR_21FmhaFwdBatchModeKargsEEEENSt9enable_ifIXnt26kattr_no_packed_fp32_ops_vIT_EEvE4typeEDpT2_: ; @_ZN7ck_tile6kentryINS_6gfx9_tELi1ENS_13FmhaFwdKernelINS_23BlockFmhaPipelineQRKSVSINS_24BlockFmhaPipelineProblemItttffthftftNS_13TileFmhaShapeINS_8sequenceIJLi128ELi128ELi32ELi256ELi32ELi256EEEENS6_IJLi4ELi1ELi1EEEENS6_IJLi32ELi32ELi16EEEES8_S9_Lb1EEELb0ENS_17ComposedAttentionILj4ELb1EEENS_30SimplifiedGenericAttentionMaskILb1EEELb0ENS_14TileFmhaTraitsILb0ELb0ELb0ELb0ELb1ELNS_22BlockAttentionBiasEnumE0ELb0ELb1ELb1ELNS_28BlockAttentionQuantScaleEnumE0ELin1ELb0ELb0EEEEENS_35BlockFmhaPipelineQXKSVSCustomPolicyILb1ELb0ELi1ELi1EEEEENS_17Default2DEpilogueINS_24Default2DEpilogueProblemIftLb0ELb0ELb1EEEvEEEEJNSR_21FmhaFwdBatchModeKargsEEEENSt9enable_ifIXnt26kattr_no_packed_fp32_ops_vIT_EEvE4typeEDpT2_
; %bb.0:
	s_add_u32 flat_scratch_lo, s6, s11
	s_addc_u32 flat_scratch_hi, s7, 0
	s_add_u32 s0, s0, s11
	s_mov_b32 s12, s8
	s_load_dwordx8 s[36:43], s[4:5], 0x0
	s_load_dwordx2 s[6:7], s[4:5], 0x20
	s_load_dwordx16 s[16:31], s[4:5], 0x28
	s_load_dwordx4 s[64:67], s[4:5], 0xa8
	s_load_dword s11, s[4:5], 0x78
	s_load_dwordx4 s[60:63], s[4:5], 0x68
	s_load_dwordx8 s[44:51], s[4:5], 0x80
	s_load_dword s8, s[4:5], 0xa0
	s_mov_b32 s32, 0
	s_addc_u32 s1, s1, 0
	s_mov_b32 s13, s9
	s_waitcnt lgkmcnt(0)
	v_mov_b32_e32 v3, s44
	s_load_dwordx8 s[52:59], s[4:5], 0xb8
	s_load_dword s9, s[4:5], 0xd8
	s_load_dwordx4 s[68:71], s[4:5], 0xe0
	buffer_store_dword v3, off, s[0:3], s32
	v_mov_b32_e32 v3, s45
	buffer_store_dword v3, off, s[0:3], s32 offset:4
	v_mov_b32_e32 v3, s46
	buffer_store_dword v3, off, s[0:3], s32 offset:8
	;; [unrolled: 2-line block ×7, first 2 shown]
	v_mov_b32_e32 v3, s8
	v_mov_b32_e32 v1, s65
	buffer_store_short v3, off, s[0:3], s32 offset:32
	v_mov_b32_e32 v3, s64
	buffer_store_dword v3, off, s[0:3], s32 offset:36
	buffer_store_short v1, off, s[0:3], s32 offset:40
	v_mov_b32_e32 v1, s66
	buffer_store_dword v1, off, s[0:3], s32 offset:48
	v_mov_b32_e32 v1, s67
	buffer_store_dword v1, off, s[0:3], s32 offset:52
	s_waitcnt lgkmcnt(0)
	v_mov_b32_e32 v1, s52
	buffer_store_dword v1, off, s[0:3], s32 offset:56
	v_mov_b32_e32 v1, s53
	buffer_store_dword v1, off, s[0:3], s32 offset:60
	;; [unrolled: 2-line block ×11, first 2 shown]
	v_mov_b32_e32 v1, s70
	v_lshrrev_b16_e64 v2, 8, s65
	buffer_store_dword v1, off, s[0:3], s32 offset:100
	v_mov_b32_e32 v1, s71
	s_add_u32 s8, s4, 0xf0
	buffer_store_dword v1, off, s[0:3], s32 offset:104
	buffer_store_short v2, off, s[0:3], s32 offset:44
	s_addc_u32 s9, s5, 0
	s_mov_b32 s14, s10
	v_mov_b32_e32 v31, v0
	v_mov_b32_e32 v0, s36
	;; [unrolled: 1-line block ×32, first 2 shown]
	s_getpc_b64 s[4:5]
	s_add_u32 s4, s4, _ZNK7ck_tile13FmhaFwdKernelINS_23BlockFmhaPipelineQRKSVSINS_24BlockFmhaPipelineProblemItttffthftftNS_13TileFmhaShapeINS_8sequenceIJLi128ELi128ELi32ELi256ELi32ELi256EEEENS4_IJLi4ELi1ELi1EEEENS4_IJLi32ELi32ELi16EEEES6_S7_Lb1EEELb0ENS_17ComposedAttentionILj4ELb1EEENS_30SimplifiedGenericAttentionMaskILb1EEELb0ENS_14TileFmhaTraitsILb0ELb0ELb0ELb0ELb1ELNS_22BlockAttentionBiasEnumE0ELb0ELb1ELb1ELNS_28BlockAttentionQuantScaleEnumE0ELin1ELb0ELb0EEEEENS_35BlockFmhaPipelineQXKSVSCustomPolicyILb1ELb0ELi1ELi1EEEEENS_17Default2DEpilogueINS_24Default2DEpilogueProblemIftLb0ELb0ELb1EEEvEEE4run_ENSP_21FmhaFwdBatchModeKargsE@rel32@lo+4
	s_addc_u32 s5, s5, _ZNK7ck_tile13FmhaFwdKernelINS_23BlockFmhaPipelineQRKSVSINS_24BlockFmhaPipelineProblemItttffthftftNS_13TileFmhaShapeINS_8sequenceIJLi128ELi128ELi32ELi256ELi32ELi256EEEENS4_IJLi4ELi1ELi1EEEENS4_IJLi32ELi32ELi16EEEES6_S7_Lb1EEELb0ENS_17ComposedAttentionILj4ELb1EEENS_30SimplifiedGenericAttentionMaskILb1EEELb0ENS_14TileFmhaTraitsILb0ELb0ELb0ELb0ELb1ELNS_22BlockAttentionBiasEnumE0ELb0ELb1ELb1ELNS_28BlockAttentionQuantScaleEnumE0ELin1ELb0ELb0EEEEENS_35BlockFmhaPipelineQXKSVSCustomPolicyILb1ELb0ELi1ELi1EEEEENS_17Default2DEpilogueINS_24Default2DEpilogueProblemIftLb0ELb0ELb1EEEvEEE4run_ENSP_21FmhaFwdBatchModeKargsE@rel32@hi+12
	s_swappc_b64 s[30:31], s[4:5]
	s_endpgm
	.section	.rodata,"a",@progbits
	.p2align	6, 0x0
	.amdhsa_kernel _ZN7ck_tile6kentryINS_6gfx9_tELi1ENS_13FmhaFwdKernelINS_23BlockFmhaPipelineQRKSVSINS_24BlockFmhaPipelineProblemItttffthftftNS_13TileFmhaShapeINS_8sequenceIJLi128ELi128ELi32ELi256ELi32ELi256EEEENS6_IJLi4ELi1ELi1EEEENS6_IJLi32ELi32ELi16EEEES8_S9_Lb1EEELb0ENS_17ComposedAttentionILj4ELb1EEENS_30SimplifiedGenericAttentionMaskILb1EEELb0ENS_14TileFmhaTraitsILb0ELb0ELb0ELb0ELb1ELNS_22BlockAttentionBiasEnumE0ELb0ELb1ELb1ELNS_28BlockAttentionQuantScaleEnumE0ELin1ELb0ELb0EEEEENS_35BlockFmhaPipelineQXKSVSCustomPolicyILb1ELb0ELi1ELi1EEEEENS_17Default2DEpilogueINS_24Default2DEpilogueProblemIftLb0ELb0ELb1EEEvEEEEJNSR_21FmhaFwdBatchModeKargsEEEENSt9enable_ifIXnt26kattr_no_packed_fp32_ops_vIT_EEvE4typeEDpT2_
		.amdhsa_group_segment_fixed_size 18432
		.amdhsa_private_segment_fixed_size 1696
		.amdhsa_kernarg_size 496
		.amdhsa_user_sgpr_count 8
		.amdhsa_user_sgpr_private_segment_buffer 1
		.amdhsa_user_sgpr_dispatch_ptr 0
		.amdhsa_user_sgpr_queue_ptr 0
		.amdhsa_user_sgpr_kernarg_segment_ptr 1
		.amdhsa_user_sgpr_dispatch_id 0
		.amdhsa_user_sgpr_flat_scratch_init 1
		.amdhsa_user_sgpr_kernarg_preload_length 0
		.amdhsa_user_sgpr_kernarg_preload_offset 0
		.amdhsa_user_sgpr_private_segment_size 0
		.amdhsa_uses_dynamic_stack 0
		.amdhsa_system_sgpr_private_segment_wavefront_offset 1
		.amdhsa_system_sgpr_workgroup_id_x 1
		.amdhsa_system_sgpr_workgroup_id_y 1
		.amdhsa_system_sgpr_workgroup_id_z 1
		.amdhsa_system_sgpr_workgroup_info 0
		.amdhsa_system_vgpr_workitem_id 0
		.amdhsa_next_free_vgpr 512
		.amdhsa_next_free_sgpr 72
		.amdhsa_accum_offset 256
		.amdhsa_reserve_vcc 1
		.amdhsa_reserve_flat_scratch 1
		.amdhsa_float_round_mode_32 0
		.amdhsa_float_round_mode_16_64 0
		.amdhsa_float_denorm_mode_32 0
		.amdhsa_float_denorm_mode_16_64 3
		.amdhsa_dx10_clamp 1
		.amdhsa_ieee_mode 1
		.amdhsa_fp16_overflow 0
		.amdhsa_tg_split 0
		.amdhsa_exception_fp_ieee_invalid_op 0
		.amdhsa_exception_fp_denorm_src 0
		.amdhsa_exception_fp_ieee_div_zero 0
		.amdhsa_exception_fp_ieee_overflow 0
		.amdhsa_exception_fp_ieee_underflow 0
		.amdhsa_exception_fp_ieee_inexact 0
		.amdhsa_exception_int_div_zero 0
	.end_amdhsa_kernel
	.section	.text._ZN7ck_tile6kentryINS_6gfx9_tELi1ENS_13FmhaFwdKernelINS_23BlockFmhaPipelineQRKSVSINS_24BlockFmhaPipelineProblemItttffthftftNS_13TileFmhaShapeINS_8sequenceIJLi128ELi128ELi32ELi256ELi32ELi256EEEENS6_IJLi4ELi1ELi1EEEENS6_IJLi32ELi32ELi16EEEES8_S9_Lb1EEELb0ENS_17ComposedAttentionILj4ELb1EEENS_30SimplifiedGenericAttentionMaskILb1EEELb0ENS_14TileFmhaTraitsILb0ELb0ELb0ELb0ELb1ELNS_22BlockAttentionBiasEnumE0ELb0ELb1ELb1ELNS_28BlockAttentionQuantScaleEnumE0ELin1ELb0ELb0EEEEENS_35BlockFmhaPipelineQXKSVSCustomPolicyILb1ELb0ELi1ELi1EEEEENS_17Default2DEpilogueINS_24Default2DEpilogueProblemIftLb0ELb0ELb1EEEvEEEEJNSR_21FmhaFwdBatchModeKargsEEEENSt9enable_ifIXnt26kattr_no_packed_fp32_ops_vIT_EEvE4typeEDpT2_,"axG",@progbits,_ZN7ck_tile6kentryINS_6gfx9_tELi1ENS_13FmhaFwdKernelINS_23BlockFmhaPipelineQRKSVSINS_24BlockFmhaPipelineProblemItttffthftftNS_13TileFmhaShapeINS_8sequenceIJLi128ELi128ELi32ELi256ELi32ELi256EEEENS6_IJLi4ELi1ELi1EEEENS6_IJLi32ELi32ELi16EEEES8_S9_Lb1EEELb0ENS_17ComposedAttentionILj4ELb1EEENS_30SimplifiedGenericAttentionMaskILb1EEELb0ENS_14TileFmhaTraitsILb0ELb0ELb0ELb0ELb1ELNS_22BlockAttentionBiasEnumE0ELb0ELb1ELb1ELNS_28BlockAttentionQuantScaleEnumE0ELin1ELb0ELb0EEEEENS_35BlockFmhaPipelineQXKSVSCustomPolicyILb1ELb0ELi1ELi1EEEEENS_17Default2DEpilogueINS_24Default2DEpilogueProblemIftLb0ELb0ELb1EEEvEEEEJNSR_21FmhaFwdBatchModeKargsEEEENSt9enable_ifIXnt26kattr_no_packed_fp32_ops_vIT_EEvE4typeEDpT2_,comdat
.Lfunc_end2:
	.size	_ZN7ck_tile6kentryINS_6gfx9_tELi1ENS_13FmhaFwdKernelINS_23BlockFmhaPipelineQRKSVSINS_24BlockFmhaPipelineProblemItttffthftftNS_13TileFmhaShapeINS_8sequenceIJLi128ELi128ELi32ELi256ELi32ELi256EEEENS6_IJLi4ELi1ELi1EEEENS6_IJLi32ELi32ELi16EEEES8_S9_Lb1EEELb0ENS_17ComposedAttentionILj4ELb1EEENS_30SimplifiedGenericAttentionMaskILb1EEELb0ENS_14TileFmhaTraitsILb0ELb0ELb0ELb0ELb1ELNS_22BlockAttentionBiasEnumE0ELb0ELb1ELb1ELNS_28BlockAttentionQuantScaleEnumE0ELin1ELb0ELb0EEEEENS_35BlockFmhaPipelineQXKSVSCustomPolicyILb1ELb0ELi1ELi1EEEEENS_17Default2DEpilogueINS_24Default2DEpilogueProblemIftLb0ELb0ELb1EEEvEEEEJNSR_21FmhaFwdBatchModeKargsEEEENSt9enable_ifIXnt26kattr_no_packed_fp32_ops_vIT_EEvE4typeEDpT2_, .Lfunc_end2-_ZN7ck_tile6kentryINS_6gfx9_tELi1ENS_13FmhaFwdKernelINS_23BlockFmhaPipelineQRKSVSINS_24BlockFmhaPipelineProblemItttffthftftNS_13TileFmhaShapeINS_8sequenceIJLi128ELi128ELi32ELi256ELi32ELi256EEEENS6_IJLi4ELi1ELi1EEEENS6_IJLi32ELi32ELi16EEEES8_S9_Lb1EEELb0ENS_17ComposedAttentionILj4ELb1EEENS_30SimplifiedGenericAttentionMaskILb1EEELb0ENS_14TileFmhaTraitsILb0ELb0ELb0ELb0ELb1ELNS_22BlockAttentionBiasEnumE0ELb0ELb1ELb1ELNS_28BlockAttentionQuantScaleEnumE0ELin1ELb0ELb0EEEEENS_35BlockFmhaPipelineQXKSVSCustomPolicyILb1ELb0ELi1ELi1EEEEENS_17Default2DEpilogueINS_24Default2DEpilogueProblemIftLb0ELb0ELb1EEEvEEEEJNSR_21FmhaFwdBatchModeKargsEEEENSt9enable_ifIXnt26kattr_no_packed_fp32_ops_vIT_EEvE4typeEDpT2_
                                        ; -- End function
	.section	.AMDGPU.csdata,"",@progbits
; Kernel info:
; codeLenInByte = 624
; NumSgprs: 78
; NumVgprs: 256
; NumAgprs: 256
; TotalNumVgprs: 512
; ScratchSize: 1696
; MemoryBound: 0
; FloatMode: 192
; IeeeMode: 1
; LDSByteSize: 18432 bytes/workgroup (compile time only)
; SGPRBlocks: 9
; VGPRBlocks: 63
; NumSGPRsForWavesPerEU: 78
; NumVGPRsForWavesPerEU: 512
; AccumOffset: 256
; Occupancy: 1
; WaveLimiterHint : 0
; COMPUTE_PGM_RSRC2:SCRATCH_EN: 1
; COMPUTE_PGM_RSRC2:USER_SGPR: 8
; COMPUTE_PGM_RSRC2:TRAP_HANDLER: 0
; COMPUTE_PGM_RSRC2:TGID_X_EN: 1
; COMPUTE_PGM_RSRC2:TGID_Y_EN: 1
; COMPUTE_PGM_RSRC2:TGID_Z_EN: 1
; COMPUTE_PGM_RSRC2:TIDIG_COMP_CNT: 0
; COMPUTE_PGM_RSRC3_GFX90A:ACCUM_OFFSET: 63
; COMPUTE_PGM_RSRC3_GFX90A:TG_SPLIT: 0
	.text
	.p2alignl 6, 3212836864
	.fill 256, 4, 3212836864
	.type	__hip_cuid_aca7a5b6d64a7260,@object ; @__hip_cuid_aca7a5b6d64a7260
	.section	.bss,"aw",@nobits
	.globl	__hip_cuid_aca7a5b6d64a7260
__hip_cuid_aca7a5b6d64a7260:
	.byte	0                               ; 0x0
	.size	__hip_cuid_aca7a5b6d64a7260, 1

	.ident	"AMD clang version 19.0.0git (https://github.com/RadeonOpenCompute/llvm-project roc-6.4.0 25133 c7fe45cf4b819c5991fe208aaa96edf142730f1d)"
	.section	".note.GNU-stack","",@progbits
	.addrsig
	.addrsig_sym __hip_cuid_aca7a5b6d64a7260
	.amdgpu_metadata
---
amdhsa.kernels:
  - .agpr_count:     0
    .args:           []
    .group_segment_fixed_size: 0
    .kernarg_segment_align: 4
    .kernarg_segment_size: 0
    .language:       OpenCL C
    .language_version:
      - 2
      - 0
    .max_flat_workgroup_size: 1024
    .name:           _ZN7ck_tileL11flush_cacheEv
    .private_segment_fixed_size: 0
    .sgpr_count:     4
    .sgpr_spill_count: 0
    .symbol:         _ZN7ck_tileL11flush_cacheEv.kd
    .uses_dynamic_stack: false
    .vgpr_count:     0
    .vgpr_spill_count: 0
    .wavefront_size: 64
  - .agpr_count:     256
    .args:
      - .offset:         0
        .size:           240
        .value_kind:     by_value
      - .offset:         240
        .size:           4
        .value_kind:     hidden_block_count_x
      - .offset:         244
        .size:           4
        .value_kind:     hidden_block_count_y
      - .offset:         248
        .size:           4
        .value_kind:     hidden_block_count_z
      - .offset:         252
        .size:           2
        .value_kind:     hidden_group_size_x
      - .offset:         254
        .size:           2
        .value_kind:     hidden_group_size_y
      - .offset:         256
        .size:           2
        .value_kind:     hidden_group_size_z
      - .offset:         258
        .size:           2
        .value_kind:     hidden_remainder_x
      - .offset:         260
        .size:           2
        .value_kind:     hidden_remainder_y
      - .offset:         262
        .size:           2
        .value_kind:     hidden_remainder_z
      - .offset:         280
        .size:           8
        .value_kind:     hidden_global_offset_x
      - .offset:         288
        .size:           8
        .value_kind:     hidden_global_offset_y
      - .offset:         296
        .size:           8
        .value_kind:     hidden_global_offset_z
      - .offset:         304
        .size:           2
        .value_kind:     hidden_grid_dims
    .group_segment_fixed_size: 18432
    .kernarg_segment_align: 8
    .kernarg_segment_size: 496
    .language:       OpenCL C
    .language_version:
      - 2
      - 0
    .max_flat_workgroup_size: 256
    .name:           _ZN7ck_tile6kentryINS_6gfx9_tELi1ENS_13FmhaFwdKernelINS_23BlockFmhaPipelineQRKSVSINS_24BlockFmhaPipelineProblemItttffthftftNS_13TileFmhaShapeINS_8sequenceIJLi128ELi128ELi32ELi256ELi32ELi256EEEENS6_IJLi4ELi1ELi1EEEENS6_IJLi32ELi32ELi16EEEES8_S9_Lb1EEELb0ENS_17ComposedAttentionILj4ELb1EEENS_30SimplifiedGenericAttentionMaskILb1EEELb0ENS_14TileFmhaTraitsILb0ELb0ELb0ELb0ELb1ELNS_22BlockAttentionBiasEnumE0ELb0ELb1ELb1ELNS_28BlockAttentionQuantScaleEnumE0ELin1ELb0ELb0EEEEENS_35BlockFmhaPipelineQXKSVSCustomPolicyILb1ELb0ELi1ELi1EEEEENS_17Default2DEpilogueINS_24Default2DEpilogueProblemIftLb0ELb0ELb1EEEvEEEEJNSR_21FmhaFwdBatchModeKargsEEEENSt9enable_ifIXnt26kattr_no_packed_fp32_ops_vIT_EEvE4typeEDpT2_
    .private_segment_fixed_size: 1696
    .sgpr_count:     78
    .sgpr_spill_count: 0
    .symbol:         _ZN7ck_tile6kentryINS_6gfx9_tELi1ENS_13FmhaFwdKernelINS_23BlockFmhaPipelineQRKSVSINS_24BlockFmhaPipelineProblemItttffthftftNS_13TileFmhaShapeINS_8sequenceIJLi128ELi128ELi32ELi256ELi32ELi256EEEENS6_IJLi4ELi1ELi1EEEENS6_IJLi32ELi32ELi16EEEES8_S9_Lb1EEELb0ENS_17ComposedAttentionILj4ELb1EEENS_30SimplifiedGenericAttentionMaskILb1EEELb0ENS_14TileFmhaTraitsILb0ELb0ELb0ELb0ELb1ELNS_22BlockAttentionBiasEnumE0ELb0ELb1ELb1ELNS_28BlockAttentionQuantScaleEnumE0ELin1ELb0ELb0EEEEENS_35BlockFmhaPipelineQXKSVSCustomPolicyILb1ELb0ELi1ELi1EEEEENS_17Default2DEpilogueINS_24Default2DEpilogueProblemIftLb0ELb0ELb1EEEvEEEEJNSR_21FmhaFwdBatchModeKargsEEEENSt9enable_ifIXnt26kattr_no_packed_fp32_ops_vIT_EEvE4typeEDpT2_.kd
    .uses_dynamic_stack: false
    .vgpr_count:     512
    .vgpr_spill_count: 0
    .wavefront_size: 64
amdhsa.target:   amdgcn-amd-amdhsa--gfx90a
amdhsa.version:
  - 1
  - 2
...

	.end_amdgpu_metadata
